;; amdgpu-corpus repo=ROCm/rocFFT kind=compiled arch=gfx1030 opt=O3
	.text
	.amdgcn_target "amdgcn-amd-amdhsa--gfx1030"
	.amdhsa_code_object_version 6
	.protected	bluestein_single_back_len624_dim1_dp_op_CI_CI ; -- Begin function bluestein_single_back_len624_dim1_dp_op_CI_CI
	.globl	bluestein_single_back_len624_dim1_dp_op_CI_CI
	.p2align	8
	.type	bluestein_single_back_len624_dim1_dp_op_CI_CI,@function
bluestein_single_back_len624_dim1_dp_op_CI_CI: ; @bluestein_single_back_len624_dim1_dp_op_CI_CI
; %bb.0:
	s_load_dwordx4 s[0:3], s[4:5], 0x28
	v_mul_u32_u24_e32 v1, 0x4ed, v0
	v_mov_b32_e32 v133, 0
	v_lshrrev_b32_e32 v1, 16, v1
	v_add_nc_u32_e32 v132, s6, v1
	s_waitcnt lgkmcnt(0)
	v_cmp_gt_u64_e32 vcc_lo, s[0:1], v[132:133]
	s_and_saveexec_b32 s0, vcc_lo
	s_cbranch_execz .LBB0_15
; %bb.1:
	v_mul_lo_u16 v1, v1, 52
	s_clause 0x1
	s_load_dwordx2 s[14:15], s[4:5], 0x0
	s_load_dwordx2 s[12:13], s[4:5], 0x38
	v_sub_nc_u16 v0, v0, v1
	v_and_b32_e32 v138, 0xffff, v0
	v_cmp_gt_u16_e32 vcc_lo, 48, v0
	v_lshlrev_b32_e32 v139, 4, v138
	v_or_b32_e32 v137, 0xc0, v138
	v_or_b32_e32 v136, 0x180, v138
	;; [unrolled: 1-line block ×3, first 2 shown]
	s_and_saveexec_b32 s1, vcc_lo
	s_cbranch_execz .LBB0_3
; %bb.2:
	s_load_dwordx2 s[6:7], s[4:5], 0x18
	s_waitcnt lgkmcnt(0)
	v_add_co_u32 v12, s0, s14, v139
	v_add_co_ci_u32_e64 v13, null, s15, 0, s0
	v_lshlrev_b32_e32 v14, 4, v137
	v_add_co_u32 v38, s0, 0x800, v12
	v_add_co_ci_u32_e64 v39, s0, 0, v13, s0
	v_add_co_u32 v46, s0, 0x1000, v12
	v_add_co_ci_u32_e64 v47, s0, 0, v13, s0
	;; [unrolled: 2-line block ×3, first 2 shown]
	v_lshlrev_b32_e32 v18, 4, v136
	v_lshlrev_b32_e32 v22, 4, v135
	s_load_dwordx4 s[8:11], s[6:7], 0x0
	s_clause 0x5
	global_load_dwordx4 v[0:3], v139, s[14:15]
	global_load_dwordx4 v[4:7], v139, s[14:15] offset:768
	global_load_dwordx4 v[8:11], v139, s[14:15] offset:1536
	global_load_dwordx4 v[14:17], v14, s[14:15]
	global_load_dwordx4 v[18:21], v18, s[14:15]
	;; [unrolled: 1-line block ×3, first 2 shown]
	s_waitcnt lgkmcnt(0)
	v_mad_u64_u32 v[26:27], null, s10, v132, 0
	v_mad_u64_u32 v[28:29], null, s8, v138, 0
	s_mul_i32 s0, s9, 0x300
	s_mul_hi_u32 s6, s8, 0x300
	v_mad_u64_u32 v[36:37], null, s8, v135, 0
	s_add_i32 s6, s6, s0
	s_mul_i32 s7, s8, 0x300
	v_mad_u64_u32 v[30:31], null, s11, v132, v[27:28]
	v_mad_u64_u32 v[31:32], null, s8, v137, 0
	;; [unrolled: 1-line block ×3, first 2 shown]
	v_mov_b32_e32 v27, v30
	v_mov_b32_e32 v30, v32
	v_mad_u64_u32 v[34:35], null, s8, v136, 0
	v_lshlrev_b64 v[26:27], 4, v[26:27]
	v_mov_b32_e32 v29, v33
	v_mov_b32_e32 v33, v37
	;; [unrolled: 1-line block ×3, first 2 shown]
	v_lshlrev_b64 v[28:29], 4, v[28:29]
	v_add_co_u32 v42, s0, s2, v26
	v_add_co_ci_u32_e64 v43, s0, s3, v27, s0
	v_mad_u64_u32 v[26:27], null, s9, v137, v[30:31]
	v_add_co_u32 v27, s0, v42, v28
	v_add_co_ci_u32_e64 v28, s0, v43, v29, s0
	v_mad_u64_u32 v[29:30], null, s9, v136, v[32:33]
	v_add_co_u32 v58, s0, v27, s7
	v_add_co_ci_u32_e64 v59, s0, s6, v28, s0
	v_mad_u64_u32 v[40:41], null, s9, v135, v[33:34]
	v_add_co_u32 v62, s0, v58, s7
	v_add_co_ci_u32_e64 v63, s0, s6, v59, s0
	v_mov_b32_e32 v32, v26
	v_add_co_u32 v66, s0, v62, s7
	v_add_co_ci_u32_e64 v67, s0, s6, v63, s0
	v_mov_b32_e32 v35, v29
	v_lshlrev_b64 v[29:30], 4, v[31:32]
	v_mov_b32_e32 v37, v40
	v_mad_u64_u32 v[70:71], null, 0x600, s8, v[66:67]
	v_lshlrev_b64 v[31:32], 4, v[34:35]
	s_mul_i32 s2, s9, 0x600
	v_add_co_u32 v35, s0, v42, v29
	v_lshlrev_b64 v[33:34], 4, v[36:37]
	v_add_co_ci_u32_e64 v36, s0, v43, v30, s0
	v_add_nc_u32_e32 v71, s2, v71
	v_add_co_u32 v50, s0, v42, v31
	v_add_co_ci_u32_e64 v51, s0, v43, v32, s0
	v_add_co_u32 v74, s0, v70, s7
	v_add_co_ci_u32_e64 v75, s0, s6, v71, s0
	global_load_dwordx4 v[26:29], v[27:28], off
	v_add_co_u32 v78, s0, v74, s7
	v_add_co_ci_u32_e64 v79, s0, s6, v75, s0
	v_add_co_u32 v54, s0, v42, v33
	global_load_dwordx4 v[30:33], v[35:36], off
	v_mad_u64_u32 v[86:87], null, 0x600, s8, v[78:79]
	v_add_co_ci_u32_e64 v55, s0, v43, v34, s0
	s_clause 0x3
	global_load_dwordx4 v[34:37], v[38:39], off offset:256
	global_load_dwordx4 v[38:41], v[38:39], off offset:1792
	;; [unrolled: 1-line block ×4, first 2 shown]
	s_clause 0x2
	global_load_dwordx4 v[50:53], v[50:51], off
	global_load_dwordx4 v[54:57], v[54:55], off
	global_load_dwordx4 v[58:61], v[58:59], off
	v_add_nc_u32_e32 v87, s2, v87
	v_add_co_u32 v90, s0, v86, s7
	s_clause 0x2
	global_load_dwordx4 v[62:65], v[62:63], off
	global_load_dwordx4 v[66:69], v[66:67], off
	;; [unrolled: 1-line block ×6, first 2 shown]
	v_add_co_ci_u32_e64 v91, s0, s6, v87, s0
	v_add_co_u32 v12, s0, 0x2000, v12
	v_add_co_ci_u32_e64 v13, s0, 0, v13, s0
	v_add_co_u32 v102, s0, v90, s7
	v_add_co_ci_u32_e64 v103, s0, s6, v91, s0
	global_load_dwordx4 v[86:89], v[94:95], off offset:768
	global_load_dwordx4 v[90:93], v[90:91], off
	s_clause 0x1
	global_load_dwordx4 v[94:97], v[94:95], off offset:1536
	global_load_dwordx4 v[98:101], v[12:13], off offset:256
	global_load_dwordx4 v[102:105], v[102:103], off
	s_waitcnt vmcnt(19)
	v_mul_f64 v[12:13], v[28:29], v[2:3]
	v_mul_f64 v[2:3], v[26:27], v[2:3]
	s_waitcnt vmcnt(18)
	v_mul_f64 v[106:107], v[32:33], v[16:17]
	v_mul_f64 v[16:17], v[30:31], v[16:17]
	;; [unrolled: 3-line block ×8, first 2 shown]
	v_fma_f64 v[10:11], v[26:27], v[0:1], v[12:13]
	v_fma_f64 v[12:13], v[28:29], v[0:1], -v[2:3]
	s_waitcnt vmcnt(6)
	v_mul_f64 v[124:125], v[80:81], v[48:49]
	v_mul_f64 v[48:49], v[78:79], v[48:49]
	s_waitcnt vmcnt(4)
	v_mul_f64 v[126:127], v[84:85], v[88:89]
	v_mul_f64 v[88:89], v[82:83], v[88:89]
	v_fma_f64 v[0:1], v[30:31], v[14:15], v[106:107]
	v_mul_f64 v[106:107], v[72:73], v[40:41]
	v_mul_f64 v[40:41], v[70:71], v[40:41]
	s_waitcnt vmcnt(2)
	v_mul_f64 v[128:129], v[92:93], v[96:97]
	v_mul_f64 v[96:97], v[90:91], v[96:97]
	s_waitcnt vmcnt(0)
	v_mul_f64 v[130:131], v[104:105], v[100:101]
	v_mul_f64 v[100:101], v[102:103], v[100:101]
	v_fma_f64 v[2:3], v[32:33], v[14:15], -v[16:17]
	v_fma_f64 v[14:15], v[50:51], v[18:19], v[108:109]
	v_fma_f64 v[16:17], v[52:53], v[18:19], -v[20:21]
	v_fma_f64 v[18:19], v[58:59], v[4:5], v[24:25]
	;; [unrolled: 2-line block ×5, first 2 shown]
	v_fma_f64 v[6:7], v[54:55], v[22:23], v[110:111]
	v_fma_f64 v[8:9], v[56:57], v[22:23], -v[112:113]
	v_fma_f64 v[32:33], v[70:71], v[38:39], v[106:107]
	v_fma_f64 v[34:35], v[72:73], v[38:39], -v[40:41]
	v_fma_f64 v[38:39], v[76:77], v[42:43], -v[44:45]
	v_fma_f64 v[40:41], v[78:79], v[46:47], v[124:125]
	v_fma_f64 v[42:43], v[80:81], v[46:47], -v[48:49]
	v_fma_f64 v[44:45], v[82:83], v[86:87], v[126:127]
	;; [unrolled: 2-line block ×4, first 2 shown]
	v_fma_f64 v[54:55], v[104:105], v[98:99], -v[100:101]
	ds_write_b128 v139, v[10:13]
	ds_write_b128 v139, v[0:3] offset:3072
	ds_write_b128 v139, v[14:17] offset:6144
	;; [unrolled: 1-line block ×12, first 2 shown]
.LBB0_3:
	s_or_b32 exec_lo, exec_lo, s1
	s_load_dwordx2 s[0:1], s[4:5], 0x20
	s_waitcnt lgkmcnt(0)
	s_barrier
	buffer_gl0_inv
                                        ; implicit-def: $vgpr4_vgpr5
                                        ; implicit-def: $vgpr44_vgpr45
                                        ; implicit-def: $vgpr36_vgpr37
                                        ; implicit-def: $vgpr28_vgpr29
                                        ; implicit-def: $vgpr24_vgpr25
                                        ; implicit-def: $vgpr12_vgpr13
                                        ; implicit-def: $vgpr8_vgpr9
                                        ; implicit-def: $vgpr16_vgpr17
                                        ; implicit-def: $vgpr20_vgpr21
                                        ; implicit-def: $vgpr32_vgpr33
                                        ; implicit-def: $vgpr40_vgpr41
                                        ; implicit-def: $vgpr48_vgpr49
                                        ; implicit-def: $vgpr52_vgpr53
	s_and_saveexec_b32 s2, vcc_lo
	s_cbranch_execz .LBB0_5
; %bb.4:
	ds_read_b128 v[4:7], v139
	ds_read_b128 v[52:55], v139 offset:768
	ds_read_b128 v[48:51], v139 offset:1536
	;; [unrolled: 1-line block ×12, first 2 shown]
.LBB0_5:
	s_or_b32 exec_lo, exec_lo, s2
	s_waitcnt lgkmcnt(0)
	v_add_f64 v[118:119], v[54:55], -v[10:11]
	v_add_f64 v[82:83], v[52:53], -v[8:9]
	s_mov_b32 s6, 0x4267c47c
	s_mov_b32 s7, 0xbfddbe06
	v_add_f64 v[72:73], v[8:9], v[52:53]
	v_add_f64 v[110:111], v[10:11], v[54:55]
	v_add_f64 v[76:77], v[50:51], -v[14:15]
	v_add_f64 v[64:65], v[48:49], -v[12:13]
	s_mov_b32 s8, 0xe00740e9
	s_mov_b32 s10, 0x42a4c3d2
	;; [unrolled: 1-line block ×4, first 2 shown]
	v_add_f64 v[56:57], v[12:13], v[48:49]
	v_add_f64 v[92:93], v[14:15], v[50:51]
	v_add_f64 v[80:81], v[46:47], -v[18:19]
	v_add_f64 v[70:71], v[44:45], -v[16:17]
	s_mov_b32 s16, 0x1ea71119
	s_mov_b32 s18, 0x66966769
	;; [unrolled: 1-line block ×4, first 2 shown]
	v_add_f64 v[58:59], v[44:45], v[16:17]
	v_add_f64 v[100:101], v[46:47], v[18:19]
	v_mul_f64 v[96:97], v[118:119], s[6:7]
	v_mul_f64 v[104:105], v[82:83], s[6:7]
	v_add_f64 v[78:79], v[36:37], -v[20:21]
	v_add_f64 v[86:87], v[38:39], -v[22:23]
	s_mov_b32 s20, 0xebaa3ed8
	s_mov_b32 s26, 0x2ef20147
	v_mul_f64 v[84:85], v[76:77], s[10:11]
	v_mul_f64 v[88:89], v[64:65], s[10:11]
	s_mov_b32 s21, 0x3fbedb7d
	s_mov_b32 s27, 0xbfedeba7
	v_add_f64 v[62:63], v[36:37], v[20:21]
	v_add_f64 v[124:125], v[38:39], v[22:23]
	v_add_f64 v[60:61], v[40:41], -v[24:25]
	v_add_f64 v[94:95], v[42:43], -v[26:27]
	v_mul_f64 v[90:91], v[80:81], s[18:19]
	v_mul_f64 v[102:103], v[70:71], s[18:19]
	s_mov_b32 s28, 0xb2365da1
	s_mov_b32 s22, 0x24c2f84
	;; [unrolled: 1-line block ×4, first 2 shown]
	v_add_f64 v[120:121], v[26:27], v[42:43]
	v_add_f64 v[116:117], v[34:35], -v[30:31]
	v_fma_f64 v[0:1], v[72:73], s[8:9], v[96:97]
	v_fma_f64 v[2:3], v[110:111], s[8:9], -v[104:105]
	v_mul_f64 v[114:115], v[78:79], s[26:27]
	v_mul_f64 v[98:99], v[86:87], s[26:27]
	s_mov_b32 s24, 0xd0032e0c
	s_mov_b32 s34, 0x4bc48dbf
	v_fma_f64 v[66:67], v[56:57], s[16:17], v[84:85]
	v_fma_f64 v[68:69], v[92:93], s[16:17], -v[88:89]
	s_mov_b32 s25, 0xbfe7f3cc
	s_mov_b32 s35, 0xbfcea1e5
	v_add_f64 v[126:127], v[30:31], v[34:35]
	s_mov_b32 s30, 0x93053d00
	v_mul_f64 v[122:123], v[60:61], s[22:23]
	v_mul_f64 v[108:109], v[94:95], s[22:23]
	v_fma_f64 v[74:75], v[58:59], s[20:21], v[90:91]
	v_fma_f64 v[106:107], v[100:101], s[20:21], -v[102:103]
	s_mov_b32 s31, 0xbfef11f4
	s_load_dwordx2 s[2:3], s[4:5], 0x8
	s_waitcnt lgkmcnt(0)
	s_barrier
	buffer_gl0_inv
	v_add_f64 v[0:1], v[4:5], v[0:1]
	v_add_f64 v[2:3], v[6:7], v[2:3]
	v_fma_f64 v[130:131], v[124:125], s[28:29], -v[114:115]
	v_fma_f64 v[128:129], v[62:63], s[28:29], v[98:99]
	v_fma_f64 v[140:141], v[120:121], s[24:25], -v[122:123]
	v_add_f64 v[0:1], v[66:67], v[0:1]
	v_add_f64 v[2:3], v[68:69], v[2:3]
	;; [unrolled: 1-line block ×3, first 2 shown]
	v_add_f64 v[68:69], v[32:33], -v[28:29]
	v_add_f64 v[0:1], v[74:75], v[0:1]
	v_add_f64 v[2:3], v[106:107], v[2:3]
	;; [unrolled: 1-line block ×3, first 2 shown]
	v_mul_f64 v[106:107], v[116:117], s[34:35]
	v_mul_f64 v[112:113], v[68:69], s[34:35]
	v_fma_f64 v[133:134], v[66:67], s[24:25], v[108:109]
	v_add_f64 v[0:1], v[128:129], v[0:1]
	v_add_f64 v[2:3], v[130:131], v[2:3]
	v_fma_f64 v[128:129], v[74:75], s[30:31], v[106:107]
	v_fma_f64 v[130:131], v[126:127], s[30:31], -v[112:113]
	v_add_f64 v[0:1], v[133:134], v[0:1]
	v_add_f64 v[2:3], v[140:141], v[2:3]
	v_mul_lo_u16 v141, v138, 13
	v_add_f64 v[0:1], v[128:129], v[0:1]
	v_add_f64 v[2:3], v[130:131], v[2:3]
	s_and_saveexec_b32 s33, vcc_lo
	s_cbranch_execz .LBB0_7
; %bb.6:
	v_mul_f64 v[128:129], v[110:111], s[30:31]
	v_mul_f64 v[130:131], v[118:119], s[34:35]
	v_add_f64 v[54:55], v[6:7], v[54:55]
	v_add_f64 v[52:53], v[4:5], v[52:53]
	s_mov_b32 s43, 0x3fcea1e5
	s_mov_b32 s42, s34
	;; [unrolled: 1-line block ×4, first 2 shown]
	v_mul_f64 v[133:134], v[92:93], s[8:9]
	v_mul_f64 v[154:155], v[76:77], s[4:5]
	;; [unrolled: 1-line block ×6, first 2 shown]
	s_mov_b32 s37, 0x3fe5384d
	s_mov_b32 s36, s22
	;; [unrolled: 1-line block ×8, first 2 shown]
	v_fma_f64 v[156:157], v[82:83], s[42:43], v[128:129]
	v_fma_f64 v[158:159], v[72:73], s[30:31], v[130:131]
	v_add_f64 v[50:51], v[50:51], v[54:55]
	v_add_f64 v[48:49], v[48:49], v[52:53]
	v_mul_f64 v[54:55], v[110:111], s[24:25]
	v_mul_f64 v[146:147], v[124:125], s[16:17]
	v_mul_f64 v[160:161], v[92:93], s[20:21]
	v_mul_f64 v[166:167], v[92:93], s[24:25]
	v_fma_f64 v[180:181], v[64:65], s[6:7], v[133:134]
	v_fma_f64 v[182:183], v[56:57], s[8:9], v[154:155]
	v_mul_f64 v[168:169], v[118:119], s[26:27]
	v_mul_f64 v[190:191], v[86:87], s[38:39]
	;; [unrolled: 1-line block ×3, first 2 shown]
	v_fma_f64 v[202:203], v[70:71], s[36:37], v[142:143]
	v_fma_f64 v[204:205], v[58:59], s[24:25], v[144:145]
	;; [unrolled: 1-line block ×3, first 2 shown]
	v_fma_f64 v[162:163], v[72:73], s[24:25], -v[162:163]
	v_fma_f64 v[133:134], v[64:65], s[4:5], v[133:134]
	v_fma_f64 v[154:155], v[56:57], s[8:9], -v[154:155]
	v_mul_f64 v[148:149], v[120:121], s[28:29]
	v_mul_f64 v[150:151], v[94:95], s[26:27]
	;; [unrolled: 1-line block ×3, first 2 shown]
	v_add_f64 v[156:157], v[6:7], v[156:157]
	v_add_f64 v[158:159], v[4:5], v[158:159]
	;; [unrolled: 1-line block ×4, first 2 shown]
	v_fma_f64 v[48:49], v[82:83], s[34:35], v[128:129]
	v_fma_f64 v[128:129], v[72:73], s[30:31], -v[130:131]
	v_fma_f64 v[130:131], v[82:83], s[36:37], v[54:55]
	v_fma_f64 v[54:55], v[82:83], s[22:23], v[54:55]
	v_mul_f64 v[172:173], v[80:81], s[10:11]
	v_mul_f64 v[52:53], v[100:101], s[8:9]
	;; [unrolled: 1-line block ×3, first 2 shown]
	v_fma_f64 v[212:213], v[64:65], s[18:19], v[160:161]
	v_fma_f64 v[160:161], v[64:65], s[40:41], v[160:161]
	;; [unrolled: 1-line block ×4, first 2 shown]
	v_fma_f64 v[194:195], v[56:57], s[20:21], -v[194:195]
	v_add_f64 v[162:163], v[4:5], v[162:163]
	v_fma_f64 v[142:143], v[70:71], s[22:23], v[142:143]
	v_fma_f64 v[144:145], v[58:59], s[24:25], -v[144:145]
	v_mul_f64 v[152:153], v[126:127], s[20:21]
	v_mul_f64 v[174:175], v[124:125], s[30:31]
	;; [unrolled: 1-line block ×3, first 2 shown]
	v_add_f64 v[156:157], v[180:181], v[156:157]
	v_add_f64 v[158:159], v[182:183], v[158:159]
	v_add_f64 v[38:39], v[38:39], v[46:47]
	v_fma_f64 v[180:181], v[82:83], s[44:45], v[164:165]
	v_add_f64 v[36:37], v[36:37], v[44:45]
	v_add_f64 v[44:45], v[6:7], v[48:49]
	v_add_f64 v[48:49], v[4:5], v[128:129]
	v_fma_f64 v[46:47], v[78:79], s[10:11], v[146:147]
	;; [unrolled: 4-line block ×3, first 2 shown]
	v_mul_f64 v[192:193], v[116:117], s[40:41]
	v_mul_f64 v[198:199], v[86:87], s[42:43]
	;; [unrolled: 1-line block ×3, first 2 shown]
	v_fma_f64 v[182:183], v[60:61], s[44:45], v[148:149]
	v_fma_f64 v[208:209], v[66:67], s[28:29], v[150:151]
	;; [unrolled: 1-line block ×3, first 2 shown]
	v_fma_f64 v[172:173], v[58:59], s[16:17], -v[172:173]
	v_fma_f64 v[218:219], v[70:71], s[6:7], v[52:53]
	v_mul_f64 v[178:179], v[120:121], s[8:9]
	v_mul_f64 v[184:185], v[86:87], s[18:19]
	v_add_f64 v[156:157], v[202:203], v[156:157]
	v_add_f64 v[158:159], v[204:205], v[158:159]
	;; [unrolled: 1-line block ×3, first 2 shown]
	v_fma_f64 v[42:43], v[64:65], s[22:23], v[166:167]
	v_add_f64 v[180:181], v[6:7], v[180:181]
	v_fma_f64 v[202:203], v[72:73], s[28:29], v[168:169]
	v_add_f64 v[36:37], v[40:41], v[36:37]
	v_add_f64 v[40:41], v[133:134], v[44:45]
	;; [unrolled: 1-line block ×3, first 2 shown]
	v_fma_f64 v[204:205], v[70:71], s[38:39], v[170:171]
	v_fma_f64 v[170:171], v[70:71], s[10:11], v[170:171]
	v_add_f64 v[48:49], v[212:213], v[128:129]
	v_add_f64 v[128:129], v[216:217], v[130:131]
	;; [unrolled: 1-line block ×4, first 2 shown]
	v_fma_f64 v[162:163], v[72:73], s[28:29], -v[168:169]
	v_fma_f64 v[168:169], v[62:63], s[16:17], -v[190:191]
	v_add_f64 v[164:165], v[6:7], v[164:165]
	v_mul_f64 v[186:187], v[110:111], s[20:21]
	v_fma_f64 v[210:211], v[68:69], s[18:19], v[152:153]
	v_fma_f64 v[146:147], v[78:79], s[38:39], v[146:147]
	v_fma_f64 v[154:155], v[78:79], s[42:43], v[174:175]
	v_add_f64 v[46:47], v[46:47], v[156:157]
	v_add_f64 v[133:134], v[214:215], v[158:159]
	v_fma_f64 v[156:157], v[64:65], s[36:37], v[166:167]
	v_fma_f64 v[158:159], v[56:57], s[24:25], v[196:197]
	v_add_f64 v[42:43], v[42:43], v[180:181]
	v_add_f64 v[160:161], v[4:5], v[202:203]
	;; [unrolled: 1-line block ×6, first 2 shown]
	v_fma_f64 v[38:39], v[78:79], s[34:35], v[174:175]
	v_fma_f64 v[166:167], v[74:75], s[20:21], v[192:193]
	;; [unrolled: 1-line block ×3, first 2 shown]
	v_fma_f64 v[180:181], v[62:63], s[30:31], -v[198:199]
	v_add_f64 v[44:45], v[204:205], v[48:49]
	v_add_f64 v[48:49], v[206:207], v[128:129]
	;; [unrolled: 1-line block ×4, first 2 shown]
	v_mul_f64 v[142:143], v[94:95], s[4:5]
	v_fma_f64 v[144:145], v[60:61], s[26:27], v[148:149]
	v_fma_f64 v[148:149], v[58:59], s[8:9], v[200:201]
	v_fma_f64 v[150:151], v[66:67], s[28:29], -v[150:151]
	v_add_f64 v[46:47], v[182:183], v[46:47]
	v_add_f64 v[130:131], v[208:209], v[133:134]
	v_fma_f64 v[133:134], v[78:79], s[40:41], v[176:177]
	v_fma_f64 v[52:53], v[70:71], s[4:5], v[52:53]
	v_add_f64 v[42:43], v[218:219], v[42:43]
	v_add_f64 v[158:159], v[158:159], v[160:161]
	v_fma_f64 v[170:171], v[56:57], s[24:25], -v[196:197]
	v_add_f64 v[156:157], v[156:157], v[164:165]
	v_add_f64 v[162:163], v[4:5], v[162:163]
	;; [unrolled: 1-line block ×4, first 2 shown]
	v_mul_f64 v[50:51], v[120:121], s[30:31]
	v_add_f64 v[34:35], v[30:31], v[34:35]
	v_add_f64 v[36:37], v[146:147], v[36:37]
	;; [unrolled: 1-line block ×6, first 2 shown]
	v_fma_f64 v[128:129], v[66:67], s[8:9], v[142:143]
	v_fma_f64 v[146:147], v[62:63], s[20:21], v[184:185]
	v_fma_f64 v[142:143], v[66:67], s[8:9], -v[142:143]
	v_mul_f64 v[188:189], v[118:119], s[18:19]
	v_add_f64 v[30:31], v[210:211], v[46:47]
	v_add_f64 v[28:29], v[166:167], v[130:131]
	v_mul_f64 v[46:47], v[92:93], s[30:31]
	v_fma_f64 v[130:131], v[60:61], s[4:5], v[178:179]
	v_add_f64 v[42:43], v[133:134], v[42:43]
	v_add_f64 v[133:134], v[148:149], v[158:159]
	v_mul_f64 v[148:149], v[94:95], s[42:43]
	v_add_f64 v[52:53], v[52:53], v[156:157]
	v_fma_f64 v[156:157], v[78:79], s[18:19], v[176:177]
	v_add_f64 v[24:25], v[24:25], v[32:33]
	v_add_f64 v[32:33], v[170:171], v[162:163]
	v_fma_f64 v[158:159], v[58:59], s[8:9], -v[200:201]
	v_add_f64 v[40:41], v[150:151], v[40:41]
	v_fma_f64 v[150:151], v[82:83], s[40:41], v[186:187]
	v_fma_f64 v[160:161], v[60:61], s[6:7], v[178:179]
	v_add_f64 v[26:27], v[26:27], v[34:35]
	v_fma_f64 v[154:155], v[60:61], s[34:35], v[50:51]
	v_add_f64 v[36:37], v[144:145], v[36:37]
	v_mul_f64 v[144:145], v[110:111], s[16:17]
	v_mul_f64 v[164:165], v[100:101], s[28:29]
	;; [unrolled: 1-line block ×3, first 2 shown]
	v_add_f64 v[54:55], v[142:143], v[54:55]
	v_mul_f64 v[110:111], v[110:111], s[8:9]
	v_fma_f64 v[142:143], v[62:63], s[20:21], -v[184:185]
	v_fma_f64 v[166:167], v[64:65], s[34:35], v[46:47]
	v_add_f64 v[48:49], v[130:131], v[48:49]
	v_mul_f64 v[130:131], v[72:73], s[8:9]
	v_add_f64 v[133:134], v[146:147], v[133:134]
	v_fma_f64 v[146:147], v[66:67], s[30:31], v[148:149]
	v_fma_f64 v[50:51], v[60:61], s[42:43], v[50:51]
	v_add_f64 v[52:53], v[156:157], v[52:53]
	v_fma_f64 v[46:47], v[64:65], s[42:43], v[46:47]
	v_fma_f64 v[34:35], v[82:83], s[18:19], v[186:187]
	v_add_f64 v[32:33], v[158:159], v[32:33]
	v_fma_f64 v[162:163], v[72:73], s[20:21], v[188:189]
	v_add_f64 v[150:151], v[6:7], v[150:151]
	v_add_f64 v[38:39], v[160:161], v[38:39]
	v_mul_f64 v[160:161], v[76:77], s[34:35]
	v_add_f64 v[44:45], v[128:129], v[44:45]
	v_fma_f64 v[128:129], v[72:73], s[20:21], -v[188:189]
	v_add_f64 v[42:43], v[154:155], v[42:43]
	v_fma_f64 v[154:155], v[82:83], s[38:39], v[144:145]
	v_fma_f64 v[170:171], v[72:73], s[16:17], v[118:119]
	v_add_f64 v[22:23], v[22:23], v[26:27]
	v_fma_f64 v[26:27], v[82:83], s[10:11], v[144:145]
	v_mul_f64 v[82:83], v[92:93], s[28:29]
	v_fma_f64 v[72:73], v[72:73], s[16:17], -v[118:119]
	v_add_f64 v[104:105], v[104:105], v[110:111]
	v_add_f64 v[96:97], v[130:131], -v[96:97]
	v_fma_f64 v[110:111], v[66:67], s[30:31], -v[148:149]
	v_add_f64 v[133:134], v[146:147], v[133:134]
	v_add_f64 v[20:21], v[20:21], v[24:25]
	;; [unrolled: 1-line block ×3, first 2 shown]
	v_fma_f64 v[52:53], v[70:71], s[26:27], v[164:165]
	v_mul_f64 v[92:93], v[92:93], s[16:17]
	v_add_f64 v[32:33], v[142:143], v[32:33]
	v_mul_f64 v[146:147], v[56:57], s[16:17]
	v_add_f64 v[46:47], v[46:47], v[150:151]
	v_add_f64 v[34:35], v[6:7], v[34:35]
	v_mul_f64 v[76:77], v[76:77], s[26:27]
	v_add_f64 v[156:157], v[4:5], v[162:163]
	v_mul_f64 v[158:159], v[80:81], s[44:45]
	v_fma_f64 v[162:163], v[56:57], s[30:31], v[160:161]
	v_add_f64 v[128:129], v[4:5], v[128:129]
	v_add_f64 v[50:51], v[6:7], v[154:155]
	;; [unrolled: 1-line block ×4, first 2 shown]
	v_fma_f64 v[168:169], v[70:71], s[44:45], v[164:165]
	v_add_f64 v[72:73], v[4:5], v[72:73]
	v_add_f64 v[6:7], v[6:7], v[104:105]
	;; [unrolled: 1-line block ×3, first 2 shown]
	v_mul_f64 v[96:97], v[100:101], s[30:31]
	v_add_f64 v[18:19], v[18:19], v[22:23]
	v_add_f64 v[16:17], v[16:17], v[20:21]
	v_mul_f64 v[20:21], v[100:101], s[20:21]
	v_fma_f64 v[22:23], v[64:65], s[26:27], v[82:83]
	v_mul_f64 v[80:81], v[80:81], s[34:35]
	v_add_f64 v[104:105], v[110:111], v[32:33]
	v_add_f64 v[84:85], v[146:147], -v[84:85]
	v_add_f64 v[32:33], v[52:53], v[46:47]
	v_add_f64 v[46:47], v[88:89], v[92:93]
	v_mul_f64 v[52:53], v[58:59], s[20:21]
	v_add_f64 v[34:35], v[166:167], v[34:35]
	v_mul_f64 v[166:167], v[124:125], s[8:9]
	v_fma_f64 v[110:111], v[56:57], s[28:29], -v[76:77]
	v_fma_f64 v[160:161], v[56:57], s[30:31], -v[160:161]
	v_fma_f64 v[150:151], v[64:65], s[44:45], v[82:83]
	v_fma_f64 v[56:57], v[56:57], s[28:29], v[76:77]
	v_add_f64 v[118:119], v[162:163], v[156:157]
	v_fma_f64 v[130:131], v[58:59], s[28:29], v[158:159]
	v_mul_f64 v[82:83], v[62:63], s[28:29]
	v_mul_f64 v[88:89], v[124:125], s[28:29]
	;; [unrolled: 1-line block ×3, first 2 shown]
	v_fma_f64 v[76:77], v[70:71], s[42:43], v[96:97]
	v_fma_f64 v[70:71], v[70:71], s[34:35], v[96:97]
	v_fma_f64 v[148:149], v[58:59], s[28:29], -v[158:159]
	v_add_f64 v[20:21], v[102:103], v[20:21]
	v_add_f64 v[22:23], v[22:23], v[26:27]
	v_mul_f64 v[26:27], v[116:117], s[26:27]
	v_mul_f64 v[92:93], v[66:67], s[24:25]
	v_add_f64 v[4:5], v[84:85], v[4:5]
	v_mul_f64 v[84:85], v[86:87], s[4:5]
	v_add_f64 v[6:7], v[46:47], v[6:7]
	v_add_f64 v[52:53], v[52:53], -v[90:91]
	v_add_f64 v[34:35], v[168:169], v[34:35]
	v_fma_f64 v[142:143], v[78:79], s[4:5], v[166:167]
	v_mul_f64 v[86:87], v[86:87], s[36:37]
	v_add_f64 v[72:73], v[110:111], v[72:73]
	v_fma_f64 v[110:111], v[58:59], s[30:31], -v[80:81]
	v_add_f64 v[128:129], v[160:161], v[128:129]
	v_add_f64 v[50:51], v[150:151], v[50:51]
	v_fma_f64 v[58:59], v[58:59], s[30:31], v[80:81]
	v_add_f64 v[56:57], v[56:57], v[144:145]
	v_add_f64 v[64:65], v[130:131], v[118:119]
	v_mul_f64 v[118:119], v[120:121], s[24:25]
	v_add_f64 v[88:89], v[114:115], v[88:89]
	v_fma_f64 v[144:145], v[78:79], s[22:23], v[124:125]
	v_mul_f64 v[114:115], v[120:121], s[16:17]
	v_mul_f64 v[102:103], v[74:75], s[30:31]
	v_add_f64 v[22:23], v[70:71], v[22:23]
	v_fma_f64 v[70:71], v[74:75], s[28:29], v[26:27]
	v_fma_f64 v[146:147], v[74:75], s[28:29], -v[26:27]
	v_mul_f64 v[26:27], v[120:121], s[20:21]
	v_mul_f64 v[96:97], v[126:127], s[28:29]
	v_add_f64 v[6:7], v[20:21], v[6:7]
	v_add_f64 v[20:21], v[82:83], -v[98:99]
	v_add_f64 v[4:5], v[52:53], v[4:5]
	v_add_f64 v[34:35], v[142:143], v[34:35]
	v_fma_f64 v[142:143], v[78:79], s[6:7], v[166:167]
	v_fma_f64 v[78:79], v[78:79], s[36:37], v[124:125]
	v_mul_f64 v[82:83], v[94:95], s[10:11]
	v_mul_f64 v[94:95], v[94:95], s[40:41]
	v_fma_f64 v[52:53], v[62:63], s[24:25], -v[86:87]
	v_add_f64 v[72:73], v[110:111], v[72:73]
	v_add_f64 v[100:101], v[148:149], v[128:129]
	v_fma_f64 v[98:99], v[62:63], s[8:9], -v[84:85]
	v_fma_f64 v[84:85], v[62:63], s[8:9], v[84:85]
	v_add_f64 v[50:51], v[76:77], v[50:51]
	v_fma_f64 v[62:63], v[62:63], s[24:25], v[86:87]
	v_add_f64 v[56:57], v[58:59], v[56:57]
	v_mul_f64 v[46:47], v[126:127], s[30:31]
	v_add_f64 v[118:119], v[122:123], v[118:119]
	v_add_f64 v[92:93], v[92:93], -v[108:109]
	v_mul_f64 v[80:81], v[116:117], s[38:39]
	v_mul_f64 v[86:87], v[126:127], s[24:25]
	;; [unrolled: 1-line block ×3, first 2 shown]
	v_add_f64 v[6:7], v[88:89], v[6:7]
	v_mul_f64 v[110:111], v[126:127], s[8:9]
	v_add_f64 v[4:5], v[20:21], v[4:5]
	v_fma_f64 v[122:123], v[60:61], s[40:41], v[26:27]
	v_mul_f64 v[116:117], v[116:117], s[4:5]
	v_add_f64 v[22:23], v[78:79], v[22:23]
	v_fma_f64 v[78:79], v[60:61], s[10:11], v[114:115]
	v_fma_f64 v[108:109], v[66:67], s[20:21], -v[94:95]
	v_mul_f64 v[90:91], v[126:127], s[16:17]
	v_add_f64 v[20:21], v[52:53], v[72:73]
	v_fma_f64 v[88:89], v[66:67], s[16:17], -v[82:83]
	v_add_f64 v[52:53], v[98:99], v[100:101]
	v_fma_f64 v[72:73], v[60:61], s[38:39], v[114:115]
	v_add_f64 v[32:33], v[142:143], v[32:33]
	v_fma_f64 v[82:83], v[66:67], s[16:17], v[82:83]
	;; [unrolled: 2-line block ×4, first 2 shown]
	v_add_f64 v[56:57], v[62:63], v[56:57]
	v_add_f64 v[100:101], v[102:103], -v[106:107]
	v_add_f64 v[102:103], v[14:15], v[18:19]
	v_add_f64 v[16:17], v[12:13], v[16:17]
	v_fma_f64 v[128:129], v[68:69], s[40:41], v[152:153]
	v_fma_f64 v[124:125], v[68:69], s[44:45], v[96:97]
	v_add_f64 v[46:47], v[112:113], v[46:47]
	v_add_f64 v[98:99], v[118:119], v[6:7]
	;; [unrolled: 1-line block ×3, first 2 shown]
	v_fma_f64 v[62:63], v[68:69], s[22:23], v[86:87]
	v_add_f64 v[34:35], v[78:79], v[34:35]
	v_fma_f64 v[78:79], v[68:69], s[4:5], v[110:111]
	v_add_f64 v[84:85], v[122:123], v[22:23]
	v_fma_f64 v[94:95], v[74:75], s[8:9], -v[116:117]
	v_add_f64 v[20:21], v[108:109], v[20:21]
	v_fma_f64 v[120:121], v[68:69], s[10:11], v[90:91]
	v_fma_f64 v[90:91], v[68:69], s[38:39], v[90:91]
	v_fma_f64 v[66:67], v[74:75], s[24:25], -v[58:59]
	v_add_f64 v[52:53], v[88:89], v[52:53]
	v_fma_f64 v[76:77], v[74:75], s[16:17], v[80:81]
	v_fma_f64 v[80:81], v[74:75], s[16:17], -v[80:81]
	v_fma_f64 v[96:97], v[68:69], s[26:27], v[96:97]
	v_fma_f64 v[130:131], v[74:75], s[20:21], -v[192:193]
	v_fma_f64 v[86:87], v[68:69], s[36:37], v[86:87]
	v_add_f64 v[72:73], v[72:73], v[32:33]
	v_fma_f64 v[58:59], v[74:75], s[24:25], v[58:59]
	v_add_f64 v[64:65], v[82:83], v[64:65]
	;; [unrolled: 2-line block ×4, first 2 shown]
	v_add_f64 v[10:11], v[10:11], v[102:103]
	v_add_f64 v[8:9], v[8:9], v[16:17]
	;; [unrolled: 1-line block ×22, first 2 shown]
	v_mov_b32_e32 v52, 4
	v_lshlrev_b32_sdwa v52, v52, v141 dst_sel:DWORD dst_unused:UNUSED_PAD src0_sel:DWORD src1_sel:WORD_0
	ds_write_b128 v52, v[8:11]
	ds_write_b128 v52, v[36:39] offset:16
	ds_write_b128 v52, v[32:35] offset:32
	;; [unrolled: 1-line block ×12, first 2 shown]
.LBB0_7:
	s_or_b32 exec_lo, exec_lo, s33
	v_and_b32_e32 v4, 0xff, v138
	v_add_nc_u16 v5, v138, 52
	v_add_nc_u16 v6, v138, 0x68
	s_load_dwordx4 s[4:7], s[0:1], 0x0
	s_waitcnt lgkmcnt(0)
	v_mul_lo_u16 v4, 0x4f, v4
	v_and_b32_e32 v7, 0xff, v5
	v_and_b32_e32 v8, 0xff, v6
	s_barrier
	buffer_gl0_inv
	v_lshrrev_b16 v124, 10, v4
	v_mul_lo_u16 v4, 0x4f, v7
	v_mul_lo_u16 v7, 0x4f, v8
	s_mov_b32 s1, 0xbfebb67a
	v_lshlrev_b32_e32 v142, 6, v138
	v_mul_lo_u16 v8, v124, 13
	v_lshrrev_b16 v125, 10, v4
	v_lshrrev_b16 v126, 10, v7
	v_sub_nc_u16 v4, v138, v8
	v_mul_lo_u16 v7, v125, 13
	v_mul_lo_u16 v8, v126, 13
	v_and_b32_e32 v127, 0xff, v4
	v_sub_nc_u16 v7, v5, v7
	v_sub_nc_u16 v6, v6, v8
	v_mad_u64_u32 v[4:5], null, v127, 48, s[2:3]
	v_and_b32_e32 v128, 0xff, v7
	v_and_b32_e32 v129, 0xff, v6
	s_clause 0x1
	global_load_dwordx4 v[36:39], v[4:5], off
	global_load_dwordx4 v[32:35], v[4:5], off offset:16
	v_mad_u64_u32 v[6:7], null, v128, 48, s[2:3]
	v_mad_u64_u32 v[8:9], null, v129, 48, s[2:3]
	s_clause 0x6
	global_load_dwordx4 v[28:31], v[4:5], off offset:32
	global_load_dwordx4 v[24:27], v[6:7], off
	global_load_dwordx4 v[20:23], v[6:7], off offset:16
	global_load_dwordx4 v[16:19], v[6:7], off offset:32
	global_load_dwordx4 v[48:51], v[8:9], off
	global_load_dwordx4 v[44:47], v[8:9], off offset:16
	global_load_dwordx4 v[40:43], v[8:9], off offset:32
	v_mov_b32_e32 v4, 4
	v_lshlrev_b32_sdwa v140, v4, v138 dst_sel:DWORD dst_unused:UNUSED_PAD src0_sel:DWORD src1_sel:WORD_0
	ds_read_b128 v[4:7], v140 offset:2496
	ds_read_b128 v[8:11], v140 offset:4992
	;; [unrolled: 1-line block ×10, first 2 shown]
	ds_read_b128 v[80:83], v140
	ds_read_b128 v[84:87], v140 offset:832
	s_waitcnt vmcnt(0) lgkmcnt(0)
	s_barrier
	buffer_gl0_inv
	v_mul_f64 v[88:89], v[6:7], v[38:39]
	v_mul_f64 v[90:91], v[4:5], v[38:39]
	;; [unrolled: 1-line block ×18, first 2 shown]
	v_fma_f64 v[4:5], v[4:5], v[36:37], -v[88:89]
	v_fma_f64 v[6:7], v[6:7], v[36:37], v[90:91]
	v_fma_f64 v[8:9], v[8:9], v[32:33], -v[92:93]
	v_fma_f64 v[10:11], v[10:11], v[32:33], v[94:95]
	;; [unrolled: 2-line block ×9, first 2 shown]
	v_mov_b32_e32 v100, 52
	v_add_f64 v[88:89], v[80:81], -v[8:9]
	v_add_f64 v[90:91], v[82:83], -v[10:11]
	v_add_f64 v[8:9], v[4:5], -v[12:13]
	v_add_f64 v[10:11], v[6:7], -v[14:15]
	v_add_f64 v[92:93], v[84:85], -v[56:57]
	v_add_f64 v[94:95], v[86:87], -v[58:59]
	v_add_f64 v[12:13], v[52:53], -v[60:61]
	v_add_f64 v[14:15], v[54:55], -v[62:63]
	v_add_f64 v[60:61], v[76:77], -v[68:69]
	v_add_f64 v[96:97], v[78:79], -v[70:71]
	v_add_f64 v[68:69], v[64:65], -v[72:73]
	v_add_f64 v[56:57], v[66:67], -v[74:75]
	v_fma_f64 v[74:75], v[80:81], 2.0, -v[88:89]
	v_fma_f64 v[80:81], v[82:83], 2.0, -v[90:91]
	;; [unrolled: 1-line block ×4, first 2 shown]
	v_add_f64 v[4:5], v[88:89], -v[10:11]
	v_add_f64 v[6:7], v[90:91], v[8:9]
	v_fma_f64 v[82:83], v[84:85], 2.0, -v[92:93]
	v_fma_f64 v[84:85], v[86:87], 2.0, -v[94:95]
	;; [unrolled: 1-line block ×4, first 2 shown]
	v_add_f64 v[8:9], v[92:93], -v[14:15]
	v_add_f64 v[10:11], v[94:95], v[12:13]
	v_fma_f64 v[86:87], v[76:77], 2.0, -v[60:61]
	v_fma_f64 v[98:99], v[78:79], 2.0, -v[96:97]
	;; [unrolled: 1-line block ×4, first 2 shown]
	v_add_f64 v[52:53], v[60:61], -v[56:57]
	v_add_f64 v[12:13], v[74:75], -v[58:59]
	;; [unrolled: 1-line block ×5, first 2 shown]
	v_add_f64 v[54:55], v[96:97], v[68:69]
	v_fma_f64 v[68:69], v[90:91], 2.0, -v[6:7]
	v_fma_f64 v[70:71], v[92:93], 2.0, -v[8:9]
	;; [unrolled: 1-line block ×3, first 2 shown]
	v_add_f64 v[62:63], v[86:87], -v[64:65]
	v_add_f64 v[64:65], v[98:99], -v[66:67]
	v_fma_f64 v[66:67], v[88:89], 2.0, -v[4:5]
	v_fma_f64 v[78:79], v[60:61], 2.0, -v[52:53]
	v_mul_u32_u24_sdwa v90, v124, v100 dst_sel:DWORD dst_unused:UNUSED_PAD src0_sel:WORD_0 src1_sel:DWORD
	v_mad_u64_u32 v[60:61], null, 0x50, v138, s[2:3]
	v_mul_u32_u24_sdwa v91, v125, v100 dst_sel:DWORD dst_unused:UNUSED_PAD src0_sel:WORD_0 src1_sel:DWORD
	v_mul_u32_u24_sdwa v92, v126, v100 dst_sel:DWORD dst_unused:UNUSED_PAD src0_sel:WORD_0 src1_sel:DWORD
	v_add_lshl_u32 v145, v90, v127, 4
	v_fma_f64 v[74:75], v[74:75], 2.0, -v[12:13]
	v_fma_f64 v[76:77], v[80:81], 2.0, -v[14:15]
	v_add_lshl_u32 v144, v91, v128, 4
	v_add_lshl_u32 v143, v92, v129, 4
	s_mov_b32 s2, 0xe8584caa
	s_mov_b32 s3, 0x3febb67a
	v_fma_f64 v[82:83], v[82:83], 2.0, -v[56:57]
	v_fma_f64 v[84:85], v[84:85], 2.0, -v[58:59]
	;; [unrolled: 1-line block ×3, first 2 shown]
	s_mov_b32 s0, s2
	v_fma_f64 v[86:87], v[86:87], 2.0, -v[62:63]
	v_fma_f64 v[88:89], v[98:99], 2.0, -v[64:65]
	ds_write_b128 v145, v[4:7] offset:624
	ds_write_b128 v145, v[66:69] offset:208
	;; [unrolled: 1-line block ×3, first 2 shown]
	ds_write_b128 v145, v[74:77]
	ds_write_b128 v144, v[70:73] offset:208
	ds_write_b128 v144, v[56:59] offset:416
	;; [unrolled: 1-line block ×3, first 2 shown]
	ds_write_b128 v144, v[82:85]
	ds_write_b128 v143, v[86:89]
	ds_write_b128 v143, v[78:81] offset:208
	ds_write_b128 v143, v[62:65] offset:416
	;; [unrolled: 1-line block ×3, first 2 shown]
	s_waitcnt lgkmcnt(0)
	s_barrier
	buffer_gl0_inv
	s_clause 0x4
	global_load_dwordx4 v[52:55], v[60:61], off offset:656
	global_load_dwordx4 v[56:59], v[60:61], off offset:688
	;; [unrolled: 1-line block ×5, first 2 shown]
	ds_read_b128 v[62:65], v140 offset:4992
	ds_read_b128 v[66:69], v140 offset:8320
	;; [unrolled: 1-line block ×10, first 2 shown]
	s_waitcnt vmcnt(4) lgkmcnt(9)
	v_mul_f64 v[102:103], v[64:65], v[54:55]
	v_mul_f64 v[104:105], v[62:63], v[54:55]
	s_waitcnt vmcnt(3) lgkmcnt(8)
	v_mul_f64 v[106:107], v[66:67], v[58:59]
	v_mul_f64 v[108:109], v[68:69], v[58:59]
	s_waitcnt lgkmcnt(7)
	v_mul_f64 v[110:111], v[72:73], v[54:55]
	v_mul_f64 v[112:113], v[70:71], v[54:55]
	s_waitcnt lgkmcnt(6)
	v_mul_f64 v[114:115], v[74:75], v[58:59]
	v_mul_f64 v[116:117], v[76:77], v[58:59]
	s_waitcnt vmcnt(2) lgkmcnt(5)
	v_mul_f64 v[118:119], v[80:81], v[6:7]
	v_mul_f64 v[120:121], v[78:79], v[6:7]
	s_waitcnt vmcnt(1) lgkmcnt(2)
	v_mul_f64 v[122:123], v[90:91], v[14:15]
	s_waitcnt vmcnt(0) lgkmcnt(0)
	v_mul_f64 v[124:125], v[98:99], v[10:11]
	v_fma_f64 v[102:103], v[62:63], v[52:53], -v[102:103]
	v_fma_f64 v[104:105], v[64:65], v[52:53], v[104:105]
	v_fma_f64 v[106:107], v[68:69], v[56:57], v[106:107]
	v_fma_f64 v[108:109], v[66:67], v[56:57], -v[108:109]
	v_mul_f64 v[62:63], v[84:85], v[6:7]
	v_mul_f64 v[64:65], v[82:83], v[6:7]
	v_fma_f64 v[70:71], v[70:71], v[52:53], -v[110:111]
	v_fma_f64 v[72:73], v[72:73], v[52:53], v[112:113]
	v_fma_f64 v[76:77], v[76:77], v[56:57], v[114:115]
	v_fma_f64 v[74:75], v[74:75], v[56:57], -v[116:117]
	v_mul_f64 v[66:67], v[88:89], v[14:15]
	v_mul_f64 v[68:69], v[86:87], v[14:15]
	;; [unrolled: 1-line block ×6, first 2 shown]
	v_fma_f64 v[78:79], v[78:79], v[4:5], -v[118:119]
	v_fma_f64 v[80:81], v[80:81], v[4:5], v[120:121]
	v_fma_f64 v[92:93], v[92:93], v[12:13], v[122:123]
	;; [unrolled: 1-line block ×3, first 2 shown]
	v_add_f64 v[118:119], v[104:105], v[106:107]
	v_add_f64 v[120:121], v[102:103], v[108:109]
	v_fma_f64 v[82:83], v[82:83], v[4:5], -v[62:63]
	v_fma_f64 v[84:85], v[84:85], v[4:5], v[64:65]
	ds_read_b128 v[62:65], v140
	v_add_f64 v[126:127], v[72:73], v[76:77]
	v_add_f64 v[128:129], v[70:71], v[74:75]
	v_fma_f64 v[86:87], v[86:87], v[12:13], -v[66:67]
	v_fma_f64 v[88:89], v[88:89], v[12:13], v[68:69]
	ds_read_b128 v[66:69], v140 offset:832
	v_fma_f64 v[94:95], v[94:95], v[8:9], -v[110:111]
	v_fma_f64 v[96:97], v[96:97], v[8:9], v[112:113]
	v_fma_f64 v[90:91], v[90:91], v[12:13], -v[114:115]
	v_fma_f64 v[98:99], v[98:99], v[8:9], -v[116:117]
	v_add_f64 v[110:111], v[104:105], -v[106:107]
	v_add_f64 v[112:113], v[102:103], -v[108:109]
	s_waitcnt lgkmcnt(0)
	s_barrier
	buffer_gl0_inv
	v_fma_f64 v[114:115], v[118:119], -0.5, v[80:81]
	v_fma_f64 v[116:117], v[120:121], -0.5, v[78:79]
	v_add_f64 v[118:119], v[72:73], -v[76:77]
	v_add_f64 v[120:121], v[70:71], -v[74:75]
	v_add_f64 v[78:79], v[78:79], v[102:103]
	v_add_f64 v[80:81], v[80:81], v[104:105]
	v_fma_f64 v[122:123], v[126:127], -0.5, v[84:85]
	v_fma_f64 v[124:125], v[128:129], -0.5, v[82:83]
	v_add_f64 v[128:129], v[62:63], v[86:87]
	v_add_f64 v[104:105], v[68:69], v[92:93]
	;; [unrolled: 1-line block ×5, first 2 shown]
	v_add_f64 v[133:134], v[88:89], -v[96:97]
	v_add_f64 v[146:147], v[90:91], v[98:99]
	v_add_f64 v[88:89], v[64:65], v[88:89]
	;; [unrolled: 1-line block ×4, first 2 shown]
	v_add_f64 v[86:87], v[86:87], -v[94:95]
	v_add_f64 v[82:83], v[92:93], -v[100:101]
	;; [unrolled: 1-line block ×3, first 2 shown]
	v_fma_f64 v[148:149], v[112:113], s[0:1], v[114:115]
	v_fma_f64 v[150:151], v[110:111], s[0:1], v[116:117]
	;; [unrolled: 1-line block ×4, first 2 shown]
	v_add_f64 v[114:115], v[92:93], v[100:101]
	v_add_f64 v[78:79], v[78:79], v[108:109]
	v_fma_f64 v[116:117], v[120:121], s[0:1], v[122:123]
	v_fma_f64 v[152:153], v[118:119], s[0:1], v[124:125]
	;; [unrolled: 1-line block ×4, first 2 shown]
	v_add_f64 v[90:91], v[128:129], v[94:95]
	v_fma_f64 v[62:63], v[126:127], -0.5, v[62:63]
	v_fma_f64 v[64:65], v[130:131], -0.5, v[64:65]
	v_add_f64 v[80:81], v[80:81], v[106:107]
	v_fma_f64 v[66:67], v[146:147], -0.5, v[66:67]
	v_add_f64 v[88:89], v[88:89], v[96:97]
	v_add_f64 v[98:99], v[102:103], v[98:99]
	;; [unrolled: 1-line block ×5, first 2 shown]
	v_mul_f64 v[92:93], v[148:149], s[2:3]
	v_mul_f64 v[94:95], v[150:151], -0.5
	v_mul_f64 v[122:123], v[110:111], s[0:1]
	v_mul_f64 v[124:125], v[112:113], -0.5
	v_fma_f64 v[68:69], v[114:115], -0.5, v[68:69]
	v_mul_f64 v[96:97], v[116:117], s[2:3]
	v_mul_f64 v[114:115], v[152:153], -0.5
	v_mul_f64 v[126:127], v[118:119], s[0:1]
	v_mul_f64 v[128:129], v[120:121], -0.5
	v_fma_f64 v[102:103], v[133:134], s[2:3], v[62:63]
	v_fma_f64 v[106:107], v[86:87], s[0:1], v[64:65]
	;; [unrolled: 1-line block ×6, first 2 shown]
	v_add_f64 v[62:63], v[88:89], v[80:81]
	v_add_f64 v[64:65], v[90:91], -v[78:79]
	v_add_f64 v[66:67], v[88:89], -v[80:81]
	v_add_f64 v[70:71], v[100:101], v[76:77]
	v_add_f64 v[72:73], v[98:99], -v[74:75]
	v_fma_f64 v[86:87], v[110:111], 0.5, v[92:93]
	v_fma_f64 v[92:93], v[112:113], s[2:3], v[94:95]
	v_fma_f64 v[94:95], v[148:149], 0.5, v[122:123]
	v_fma_f64 v[110:111], v[150:151], s[0:1], v[124:125]
	v_fma_f64 v[112:113], v[84:85], s[0:1], v[68:69]
	;; [unrolled: 1-line block ×3, first 2 shown]
	v_fma_f64 v[118:119], v[118:119], 0.5, v[96:97]
	v_fma_f64 v[114:115], v[120:121], s[2:3], v[114:115]
	v_fma_f64 v[116:117], v[116:117], 0.5, v[126:127]
	v_fma_f64 v[120:121], v[152:153], s[0:1], v[128:129]
	v_sub_co_u32 v124, s0, v60, v142
	v_subrev_co_ci_u32_e64 v125, s0, 0, v61, s0
	v_add_f64 v[60:61], v[90:91], v[78:79]
	v_add_f64 v[68:69], v[98:99], v[74:75]
	v_add_f64 v[74:75], v[100:101], -v[76:77]
	v_lshlrev_b32_e32 v142, 4, v138
	v_add_f64 v[76:77], v[102:103], v[86:87]
	v_add_f64 v[80:81], v[104:105], v[92:93]
	;; [unrolled: 1-line block ×4, first 2 shown]
	v_add_f64 v[84:85], v[102:103], -v[86:87]
	v_add_f64 v[86:87], v[106:107], -v[94:95]
	v_add_f64 v[88:89], v[104:105], -v[92:93]
	v_add_f64 v[90:91], v[108:109], -v[110:111]
	v_add_f64 v[92:93], v[130:131], v[118:119]
	v_add_f64 v[94:95], v[112:113], v[116:117]
	;; [unrolled: 1-line block ×4, first 2 shown]
	v_add_f64 v[100:101], v[130:131], -v[118:119]
	v_add_f64 v[102:103], v[112:113], -v[116:117]
	;; [unrolled: 1-line block ×4, first 2 shown]
	v_add_co_u32 v108, s0, 0x1000, v124
	v_add_co_ci_u32_e64 v109, s0, 0, v125, s0
	v_add_co_u32 v110, s0, 0x1800, v124
	v_add_co_ci_u32_e64 v111, s0, 0, v125, s0
	ds_write_b128 v140, v[60:63]
	ds_write_b128 v140, v[64:67] offset:2496
	ds_write_b128 v140, v[68:71] offset:4992
	;; [unrolled: 1-line block ×11, first 2 shown]
	v_add_co_u32 v76, s0, 0x2000, v124
	v_add_co_ci_u32_e64 v77, s0, 0, v125, s0
	s_waitcnt lgkmcnt(0)
	s_barrier
	buffer_gl0_inv
	s_clause 0x5
	global_load_dwordx4 v[64:67], v[108:109], off offset:688
	global_load_dwordx4 v[60:63], v[108:109], off offset:1520
	;; [unrolled: 1-line block ×6, first 2 shown]
	ds_read_b128 v[84:87], v140 offset:4992
	ds_read_b128 v[88:91], v140 offset:5824
	;; [unrolled: 1-line block ×6, first 2 shown]
	ds_read_b128 v[108:111], v140
	ds_read_b128 v[116:119], v140 offset:832
	ds_read_b128 v[124:127], v140 offset:1664
	;; [unrolled: 1-line block ×3, first 2 shown]
	s_waitcnt vmcnt(5) lgkmcnt(9)
	v_mul_f64 v[112:113], v[86:87], v[66:67]
	v_mul_f64 v[114:115], v[84:85], v[66:67]
	s_waitcnt vmcnt(4) lgkmcnt(8)
	v_mul_f64 v[120:121], v[90:91], v[62:63]
	v_mul_f64 v[122:123], v[88:89], v[62:63]
	;; [unrolled: 3-line block ×6, first 2 shown]
	v_fma_f64 v[84:85], v[84:85], v[64:65], -v[112:113]
	v_fma_f64 v[86:87], v[86:87], v[64:65], v[114:115]
	v_fma_f64 v[112:113], v[88:89], v[60:61], -v[120:121]
	v_fma_f64 v[114:115], v[90:91], v[60:61], v[122:123]
	;; [unrolled: 2-line block ×6, first 2 shown]
	ds_read_b128 v[146:149], v140 offset:3328
	ds_read_b128 v[150:153], v140 offset:4160
	s_waitcnt lgkmcnt(5)
	v_add_f64 v[88:89], v[108:109], -v[84:85]
	v_add_f64 v[90:91], v[110:111], -v[86:87]
	s_waitcnt lgkmcnt(4)
	v_add_f64 v[92:93], v[116:117], -v[112:113]
	v_add_f64 v[94:95], v[118:119], -v[114:115]
	;; [unrolled: 3-line block ×6, first 2 shown]
	v_fma_f64 v[84:85], v[108:109], 2.0, -v[88:89]
	v_fma_f64 v[86:87], v[110:111], 2.0, -v[90:91]
	;; [unrolled: 1-line block ×12, first 2 shown]
	ds_write_b128 v140, v[88:91] offset:4992
	ds_write_b128 v140, v[92:95] offset:5824
	ds_write_b128 v140, v[100:103] offset:6656
	ds_write_b128 v140, v[120:123] offset:7488
	ds_write_b128 v140, v[112:115] offset:8320
	ds_write_b128 v140, v[104:107] offset:9152
	ds_write_b128 v140, v[84:87]
	ds_write_b128 v140, v[96:99] offset:832
	ds_write_b128 v140, v[108:111] offset:1664
	;; [unrolled: 1-line block ×5, first 2 shown]
	s_waitcnt lgkmcnt(0)
	s_barrier
	buffer_gl0_inv
	s_and_saveexec_b32 s1, vcc_lo
	s_cbranch_execz .LBB0_9
; %bb.8:
	s_add_u32 s2, s14, 0x2700
	s_addc_u32 s3, s15, 0
	v_add_co_u32 v133, s0, s2, v139
	s_clause 0x2
	global_load_dwordx4 v[146:149], v139, s[2:3]
	global_load_dwordx4 v[150:153], v139, s[2:3] offset:768
	global_load_dwordx4 v[154:157], v139, s[2:3] offset:1536
	v_add_co_ci_u32_e64 v134, null, s3, 0, s0
	v_add_co_u32 v166, s0, 0x800, v133
	v_or_b32_e32 v162, 0xc00, v139
	v_add_co_ci_u32_e64 v167, s0, 0, v134, s0
	v_add_co_u32 v174, s0, 0x1000, v133
	v_add_co_ci_u32_e64 v175, s0, 0, v134, s0
	s_clause 0x4
	global_load_dwordx4 v[158:161], v[166:167], off offset:256
	global_load_dwordx4 v[162:165], v162, s[2:3]
	global_load_dwordx4 v[166:169], v[166:167], off offset:1792
	global_load_dwordx4 v[170:173], v[174:175], off offset:512
	;; [unrolled: 1-line block ×3, first 2 shown]
	v_or_b32_e32 v178, 0x1800, v139
	v_add_co_u32 v186, s0, 0x1800, v133
	v_add_co_ci_u32_e64 v187, s0, 0, v134, s0
	s_clause 0x2
	global_load_dwordx4 v[178:181], v178, s[2:3]
	global_load_dwordx4 v[182:185], v[186:187], off offset:768
	global_load_dwordx4 v[186:189], v[186:187], off offset:1536
	ds_read_b128 v[190:193], v140
	v_add_co_u32 v133, s0, 0x2000, v133
	v_add_co_ci_u32_e64 v134, s0, 0, v134, s0
	s_waitcnt vmcnt(10) lgkmcnt(0)
	v_mul_f64 v[194:195], v[192:193], v[148:149]
	v_mul_f64 v[148:149], v[190:191], v[148:149]
	v_fma_f64 v[190:191], v[190:191], v[146:147], -v[194:195]
	v_fma_f64 v[192:193], v[192:193], v[146:147], v[148:149]
	ds_write_b128 v140, v[190:193]
	ds_read_b128 v[146:149], v142 offset:768
	ds_read_b128 v[190:193], v142 offset:1536
	s_waitcnt vmcnt(9) lgkmcnt(1)
	v_mul_f64 v[194:195], v[148:149], v[152:153]
	v_mul_f64 v[152:153], v[146:147], v[152:153]
	v_fma_f64 v[146:147], v[146:147], v[150:151], -v[194:195]
	s_waitcnt vmcnt(8) lgkmcnt(0)
	v_mul_f64 v[194:195], v[192:193], v[156:157]
	v_mul_f64 v[156:157], v[190:191], v[156:157]
	v_fma_f64 v[148:149], v[148:149], v[150:151], v[152:153]
	ds_read_b128 v[150:153], v142 offset:2304
	v_fma_f64 v[190:191], v[190:191], v[154:155], -v[194:195]
	v_fma_f64 v[192:193], v[192:193], v[154:155], v[156:157]
	ds_read_b128 v[154:157], v142 offset:3072
	s_waitcnt vmcnt(7) lgkmcnt(1)
	v_mul_f64 v[194:195], v[152:153], v[160:161]
	v_mul_f64 v[160:161], v[150:151], v[160:161]
	v_fma_f64 v[150:151], v[150:151], v[158:159], -v[194:195]
	s_waitcnt vmcnt(6) lgkmcnt(0)
	v_mul_f64 v[194:195], v[156:157], v[164:165]
	v_mul_f64 v[164:165], v[154:155], v[164:165]
	v_fma_f64 v[152:153], v[152:153], v[158:159], v[160:161]
	ds_read_b128 v[158:161], v142 offset:3840
	v_fma_f64 v[154:155], v[154:155], v[162:163], -v[194:195]
	v_fma_f64 v[156:157], v[156:157], v[162:163], v[164:165]
	;; [unrolled: 12-line block ×4, first 2 shown]
	ds_read_b128 v[178:181], v142 offset:7680
	s_waitcnt vmcnt(1) lgkmcnt(1)
	v_mul_f64 v[194:195], v[176:177], v[184:185]
	v_mul_f64 v[184:185], v[174:175], v[184:185]
	v_fma_f64 v[174:175], v[174:175], v[182:183], -v[194:195]
	v_fma_f64 v[176:177], v[176:177], v[182:183], v[184:185]
	s_waitcnt vmcnt(0) lgkmcnt(0)
	v_mul_f64 v[194:195], v[180:181], v[188:189]
	global_load_dwordx4 v[182:185], v[133:134], off offset:256
	v_mul_f64 v[133:134], v[178:179], v[188:189]
	v_or_b32_e32 v188, 0x2400, v139
	v_fma_f64 v[178:179], v[178:179], v[186:187], -v[194:195]
	v_fma_f64 v[180:181], v[180:181], v[186:187], v[133:134]
	global_load_dwordx4 v[186:189], v188, s[2:3]
	ds_read_b128 v[194:197], v142 offset:8448
	ds_read_b128 v[198:201], v142 offset:9216
	s_waitcnt vmcnt(1) lgkmcnt(1)
	v_mul_f64 v[133:134], v[196:197], v[184:185]
	v_mul_f64 v[184:185], v[194:195], v[184:185]
	v_fma_f64 v[194:195], v[194:195], v[182:183], -v[133:134]
	v_fma_f64 v[196:197], v[196:197], v[182:183], v[184:185]
	s_waitcnt vmcnt(0) lgkmcnt(0)
	v_mul_f64 v[133:134], v[200:201], v[188:189]
	v_mul_f64 v[184:185], v[198:199], v[188:189]
	v_fma_f64 v[182:183], v[198:199], v[186:187], -v[133:134]
	v_fma_f64 v[184:185], v[200:201], v[186:187], v[184:185]
	ds_write_b128 v142, v[146:149] offset:768
	ds_write_b128 v142, v[190:193] offset:1536
	;; [unrolled: 1-line block ×12, first 2 shown]
.LBB0_9:
	s_or_b32 exec_lo, exec_lo, s1
	s_waitcnt lgkmcnt(0)
	s_barrier
	buffer_gl0_inv
	s_and_saveexec_b32 s0, vcc_lo
	s_cbranch_execz .LBB0_11
; %bb.10:
	ds_read_b128 v[84:87], v140
	ds_read_b128 v[88:91], v140 offset:768
	ds_read_b128 v[96:99], v140 offset:1536
	;; [unrolled: 1-line block ×12, first 2 shown]
.LBB0_11:
	s_or_b32 exec_lo, exec_lo, s0
	s_waitcnt lgkmcnt(0)
	s_barrier
	buffer_gl0_inv
	s_and_saveexec_b32 s33, vcc_lo
	s_cbranch_execz .LBB0_13
; %bb.12:
	v_add_f64 v[133:134], v[86:87], v[90:91]
	v_add_f64 v[146:147], v[84:85], v[88:89]
	v_add_f64 v[150:151], v[128:129], -v[120:121]
	v_add_f64 v[152:153], v[102:103], -v[126:127]
	v_add_f64 v[154:155], v[124:125], v[100:101]
	v_add_f64 v[156:157], v[110:111], v[114:115]
	;; [unrolled: 1-line block ×6, first 2 shown]
	s_mov_b32 s37, 0x3fddbe06
	s_mov_b32 s36, 0x4267c47c
	;; [unrolled: 1-line block ×7, first 2 shown]
	v_add_f64 v[164:165], v[106:107], v[98:99]
	s_mov_b32 s35, 0x3fefc445
	s_mov_b32 s31, 0xbfedeba7
	;; [unrolled: 1-line block ×4, first 2 shown]
	v_add_f64 v[133:134], v[98:99], v[133:134]
	v_add_f64 v[146:147], v[96:97], v[146:147]
	s_mov_b32 s25, 0xbfe5384d
	s_mov_b32 s27, 0xbfea55e2
	;; [unrolled: 1-line block ×5, first 2 shown]
	v_mul_f64 v[168:169], v[150:151], s[36:37]
	s_mov_b32 s10, 0xebaa3ed8
	s_mov_b32 s8, 0xb2365da1
	;; [unrolled: 1-line block ×10, first 2 shown]
	v_mul_f64 v[218:219], v[150:151], s[34:35]
	s_mov_b32 s39, 0x3fe5384d
	s_mov_b32 s38, s24
	v_mul_f64 v[242:243], v[150:151], s[24:25]
	v_add_f64 v[133:134], v[94:95], v[133:134]
	v_add_f64 v[146:147], v[92:93], v[146:147]
	;; [unrolled: 1-line block ×10, first 2 shown]
	v_add_f64 v[130:131], v[130:131], -v[122:123]
	v_add_f64 v[122:123], v[122:123], v[148:149]
	v_add_f64 v[120:121], v[120:121], v[146:147]
	v_add_f64 v[146:147], v[100:101], -v[124:125]
	v_add_f64 v[148:149], v[126:127], v[102:103]
	v_mul_f64 v[170:171], v[130:131], s[36:37]
	v_mul_f64 v[220:221], v[130:131], s[34:35]
	;; [unrolled: 1-line block ×3, first 2 shown]
	v_add_f64 v[100:101], v[126:127], v[122:123]
	v_add_f64 v[102:103], v[124:125], v[120:121]
	v_add_f64 v[120:121], v[108:109], -v[112:113]
	v_add_f64 v[122:123], v[110:111], -v[114:115]
	;; [unrolled: 1-line block ×4, first 2 shown]
	v_add_f64 v[100:101], v[114:115], v[100:101]
	v_add_f64 v[102:103], v[112:113], v[102:103]
	v_add_f64 v[112:113], v[96:97], -v[104:105]
	v_add_f64 v[114:115], v[98:99], -v[106:107]
	;; [unrolled: 1-line block ×4, first 2 shown]
	v_add_f64 v[90:91], v[2:3], v[90:91]
	v_add_f64 v[88:89], v[0:1], v[88:89]
	v_mul_f64 v[124:125], v[120:121], s[36:37]
	v_mul_f64 v[126:127], v[122:123], s[36:37]
	v_add_f64 v[92:93], v[118:119], v[100:101]
	v_add_f64 v[94:95], v[116:117], v[102:103]
	v_mul_f64 v[100:101], v[146:147], s[36:37]
	v_mul_f64 v[102:103], v[152:153], s[36:37]
	v_mul_f64 v[116:117], v[108:109], s[36:37]
	v_mul_f64 v[118:119], v[110:111], s[36:37]
	v_mul_f64 v[172:173], v[96:97], s[30:31]
	v_mul_f64 v[174:175], v[96:97], s[22:23]
	v_mul_f64 v[176:177], v[96:97], s[26:27]
	v_mul_f64 v[190:191], v[98:99], s[24:25]
	v_mul_f64 v[192:193], v[98:99], s[30:31]
	v_mul_f64 v[194:195], v[98:99], s[22:23]
	v_mul_f64 v[196:197], v[98:99], s[26:27]
	v_add_f64 v[92:93], v[106:107], v[92:93]
	v_add_f64 v[94:95], v[104:105], v[94:95]
	v_mul_f64 v[104:105], v[96:97], s[28:29]
	v_mul_f64 v[106:107], v[96:97], s[24:25]
	v_fma_f64 v[182:183], v[90:91], s[8:9], v[172:173]
	v_fma_f64 v[172:173], v[90:91], s[8:9], -v[172:173]
	v_fma_f64 v[184:185], v[90:91], s[10:11], v[174:175]
	v_fma_f64 v[174:175], v[90:91], s[10:11], -v[174:175]
	v_fma_f64 v[186:187], v[90:91], s[16:17], -v[176:177]
	v_fma_f64 v[176:177], v[90:91], s[16:17], v[176:177]
	v_fma_f64 v[200:201], v[88:89], s[2:3], -v[190:191]
	v_fma_f64 v[190:191], v[88:89], s[2:3], v[190:191]
	;; [unrolled: 2-line block ×4, first 2 shown]
	v_fma_f64 v[206:207], v[88:89], s[16:17], v[196:197]
	v_fma_f64 v[196:197], v[88:89], s[16:17], -v[196:197]
	v_add_f64 v[2:3], v[2:3], v[92:93]
	v_add_f64 v[0:1], v[0:1], v[94:95]
	v_mul_f64 v[92:93], v[112:113], s[36:37]
	v_mul_f64 v[94:95], v[114:115], s[36:37]
	s_mov_b32 s37, 0xbfddbe06
	v_fma_f64 v[178:179], v[90:91], s[0:1], v[104:105]
	v_mul_f64 v[96:97], v[96:97], s[36:37]
	v_fma_f64 v[104:105], v[90:91], s[0:1], -v[104:105]
	v_fma_f64 v[180:181], v[90:91], s[2:3], v[106:107]
	v_fma_f64 v[106:107], v[90:91], s[2:3], -v[106:107]
	v_add_f64 v[182:183], v[86:87], v[182:183]
	v_add_f64 v[172:173], v[86:87], v[172:173]
	;; [unrolled: 1-line block ×10, first 2 shown]
	v_fma_f64 v[188:189], v[90:91], s[18:19], -v[96:97]
	v_fma_f64 v[90:91], v[90:91], s[18:19], v[96:97]
	v_mul_f64 v[96:97], v[98:99], s[28:29]
	v_mul_f64 v[98:99], v[98:99], s[36:37]
	v_add_f64 v[104:105], v[86:87], v[104:105]
	v_add_f64 v[180:181], v[86:87], v[180:181]
	;; [unrolled: 1-line block ×3, first 2 shown]
	s_mov_b32 s37, 0x3fcea1e5
	s_mov_b32 s36, s28
	v_add_f64 v[188:189], v[86:87], v[188:189]
	v_fma_f64 v[198:199], v[88:89], s[0:1], -v[96:97]
	v_fma_f64 v[96:97], v[88:89], s[0:1], v[96:97]
	v_fma_f64 v[208:209], v[88:89], s[18:19], v[98:99]
	v_fma_f64 v[88:89], v[88:89], s[18:19], -v[98:99]
	v_add_f64 v[98:99], v[86:87], v[178:179]
	v_add_f64 v[178:179], v[84:85], v[198:199]
	v_add_f64 v[96:97], v[84:85], v[96:97]
	v_add_f64 v[198:199], v[84:85], v[200:201]
	v_add_f64 v[200:201], v[84:85], v[202:203]
	v_add_f64 v[202:203], v[84:85], v[204:205]
	v_add_f64 v[204:205], v[84:85], v[206:207]
	v_add_f64 v[206:207], v[84:85], v[208:209]
	v_add_f64 v[210:211], v[84:85], v[88:89]
	v_fma_f64 v[84:85], v[164:165], s[18:19], v[92:93]
	v_mul_f64 v[88:89], v[108:109], s[24:25]
	v_add_f64 v[208:209], v[86:87], v[90:91]
	v_fma_f64 v[86:87], v[166:167], s[18:19], -v[94:95]
	v_fma_f64 v[92:93], v[164:165], s[18:19], -v[92:93]
	v_fma_f64 v[94:95], v[166:167], s[18:19], v[94:95]
	v_add_f64 v[84:85], v[84:85], v[98:99]
	v_fma_f64 v[90:91], v[160:161], s[2:3], v[88:89]
	v_fma_f64 v[88:89], v[160:161], s[2:3], -v[88:89]
	v_add_f64 v[86:87], v[86:87], v[178:179]
	v_add_f64 v[92:93], v[92:93], v[104:105]
	;; [unrolled: 1-line block ×3, first 2 shown]
	v_mul_f64 v[96:97], v[112:113], s[34:35]
	v_mul_f64 v[104:105], v[108:109], s[26:27]
	v_add_f64 v[84:85], v[90:91], v[84:85]
	v_mul_f64 v[90:91], v[110:111], s[24:25]
	v_add_f64 v[88:89], v[88:89], v[92:93]
	v_fma_f64 v[98:99], v[162:163], s[2:3], -v[90:91]
	v_fma_f64 v[90:91], v[162:163], s[2:3], v[90:91]
	v_add_f64 v[86:87], v[98:99], v[86:87]
	v_mul_f64 v[98:99], v[120:121], s[20:21]
	v_add_f64 v[90:91], v[90:91], v[94:95]
	v_fma_f64 v[94:95], v[128:129], s[10:11], v[220:221]
	v_fma_f64 v[178:179], v[156:157], s[16:17], v[98:99]
	v_fma_f64 v[92:93], v[156:157], s[16:17], -v[98:99]
	v_mul_f64 v[98:99], v[114:115], s[34:35]
	v_add_f64 v[84:85], v[178:179], v[84:85]
	v_mul_f64 v[178:179], v[122:123], s[20:21]
	v_add_f64 v[88:89], v[92:93], v[88:89]
	v_fma_f64 v[212:213], v[158:159], s[16:17], -v[178:179]
	v_fma_f64 v[92:93], v[158:159], s[16:17], v[178:179]
	v_fma_f64 v[178:179], v[160:161], s[16:17], v[104:105]
	v_fma_f64 v[104:105], v[160:161], s[16:17], -v[104:105]
	v_add_f64 v[86:87], v[212:213], v[86:87]
	v_mul_f64 v[212:213], v[146:147], s[30:31]
	v_add_f64 v[90:91], v[92:93], v[90:91]
	v_fma_f64 v[214:215], v[148:149], s[8:9], v[212:213]
	v_fma_f64 v[92:93], v[148:149], s[8:9], -v[212:213]
	v_add_f64 v[84:85], v[214:215], v[84:85]
	v_mul_f64 v[214:215], v[152:153], s[30:31]
	v_add_f64 v[88:89], v[92:93], v[88:89]
	v_fma_f64 v[92:93], v[154:155], s[8:9], v[214:215]
	v_fma_f64 v[216:217], v[154:155], s[8:9], -v[214:215]
	v_mul_f64 v[214:215], v[150:151], s[30:31]
	v_add_f64 v[92:93], v[92:93], v[90:91]
	v_fma_f64 v[90:91], v[133:134], s[10:11], -v[218:219]
	v_add_f64 v[216:217], v[216:217], v[86:87]
	v_fma_f64 v[86:87], v[133:134], s[10:11], v[218:219]
	v_mul_f64 v[218:219], v[130:131], s[28:29]
	v_add_f64 v[90:91], v[90:91], v[88:89]
	v_add_f64 v[88:89], v[94:95], v[92:93]
	v_fma_f64 v[92:93], v[164:165], s[10:11], v[96:97]
	v_fma_f64 v[94:95], v[166:167], s[10:11], -v[98:99]
	v_fma_f64 v[96:97], v[164:165], s[10:11], -v[96:97]
	v_fma_f64 v[98:99], v[166:167], s[10:11], v[98:99]
	v_add_f64 v[86:87], v[86:87], v[84:85]
	v_fma_f64 v[84:85], v[128:129], s[10:11], -v[220:221]
	v_mul_f64 v[220:221], v[112:113], s[30:31]
	v_add_f64 v[92:93], v[92:93], v[180:181]
	v_add_f64 v[94:95], v[94:95], v[198:199]
	v_add_f64 v[96:97], v[96:97], v[106:107]
	v_add_f64 v[98:99], v[98:99], v[190:191]
	v_mul_f64 v[190:191], v[110:111], s[22:23]
	v_add_f64 v[84:85], v[84:85], v[216:217]
	v_mul_f64 v[216:217], v[130:131], s[30:31]
	v_mul_f64 v[130:131], v[130:131], s[20:21]
	v_add_f64 v[92:93], v[178:179], v[92:93]
	v_mul_f64 v[178:179], v[110:111], s[26:27]
	v_add_f64 v[96:97], v[104:105], v[96:97]
	v_fma_f64 v[180:181], v[162:163], s[16:17], -v[178:179]
	v_fma_f64 v[104:105], v[162:163], s[16:17], v[178:179]
	v_mul_f64 v[178:179], v[112:113], s[26:27]
	v_add_f64 v[94:95], v[180:181], v[94:95]
	v_mul_f64 v[180:181], v[120:121], s[36:37]
	v_add_f64 v[98:99], v[104:105], v[98:99]
	v_fma_f64 v[198:199], v[156:157], s[0:1], v[180:181]
	v_fma_f64 v[104:105], v[156:157], s[0:1], -v[180:181]
	v_mul_f64 v[180:181], v[114:115], s[26:27]
	v_add_f64 v[92:93], v[198:199], v[92:93]
	v_mul_f64 v[198:199], v[122:123], s[36:37]
	v_add_f64 v[96:97], v[104:105], v[96:97]
	v_fma_f64 v[212:213], v[158:159], s[0:1], -v[198:199]
	v_fma_f64 v[104:105], v[158:159], s[0:1], v[198:199]
	v_mul_f64 v[198:199], v[120:121], s[30:31]
	v_add_f64 v[94:95], v[212:213], v[94:95]
	v_fma_f64 v[212:213], v[148:149], s[18:19], v[100:101]
	v_fma_f64 v[100:101], v[148:149], s[18:19], -v[100:101]
	v_add_f64 v[98:99], v[104:105], v[98:99]
	v_add_f64 v[92:93], v[212:213], v[92:93]
	;; [unrolled: 1-line block ×3, first 2 shown]
	v_fma_f64 v[100:101], v[154:155], s[18:19], v[102:103]
	v_fma_f64 v[212:213], v[154:155], s[18:19], -v[102:103]
	v_fma_f64 v[102:103], v[128:129], s[8:9], v[216:217]
	v_add_f64 v[100:101], v[100:101], v[98:99]
	v_fma_f64 v[98:99], v[133:134], s[8:9], -v[214:215]
	v_add_f64 v[212:213], v[212:213], v[94:95]
	v_fma_f64 v[94:95], v[133:134], s[8:9], v[214:215]
	v_mul_f64 v[214:215], v[152:153], s[24:25]
	v_add_f64 v[98:99], v[98:99], v[96:97]
	v_add_f64 v[96:97], v[102:103], v[100:101]
	v_fma_f64 v[100:101], v[164:165], s[16:17], -v[178:179]
	v_fma_f64 v[102:103], v[166:167], s[16:17], v[180:181]
	v_add_f64 v[94:95], v[94:95], v[92:93]
	v_fma_f64 v[92:93], v[128:129], s[8:9], -v[216:217]
	v_mul_f64 v[216:217], v[150:151], s[28:29]
	v_mul_f64 v[150:151], v[150:151], s[20:21]
	v_add_f64 v[100:101], v[100:101], v[188:189]
	v_mul_f64 v[188:189], v[108:109], s[22:23]
	v_add_f64 v[102:103], v[102:103], v[206:207]
	;; [unrolled: 2-line block ×3, first 2 shown]
	v_mul_f64 v[212:213], v[146:147], s[24:25]
	v_fma_f64 v[104:105], v[160:161], s[10:11], -v[188:189]
	v_add_f64 v[100:101], v[104:105], v[100:101]
	v_fma_f64 v[104:105], v[162:163], s[10:11], v[190:191]
	v_add_f64 v[102:103], v[104:105], v[102:103]
	v_fma_f64 v[104:105], v[156:157], s[8:9], -v[198:199]
	v_add_f64 v[100:101], v[104:105], v[100:101]
	v_fma_f64 v[104:105], v[158:159], s[8:9], v[206:207]
	v_add_f64 v[102:103], v[104:105], v[102:103]
	;; [unrolled: 4-line block ×4, first 2 shown]
	v_fma_f64 v[104:105], v[164:165], s[8:9], -v[220:221]
	v_add_f64 v[104:105], v[104:105], v[186:187]
	v_mul_f64 v[186:187], v[114:115], s[30:31]
	s_mov_b32 s31, 0x3fedeba7
	v_fma_f64 v[106:107], v[166:167], s[8:9], v[186:187]
	v_add_f64 v[106:107], v[106:107], v[204:205]
	v_mul_f64 v[204:205], v[108:109], s[28:29]
	v_fma_f64 v[222:223], v[160:161], s[0:1], -v[204:205]
	v_add_f64 v[104:105], v[222:223], v[104:105]
	v_mul_f64 v[222:223], v[110:111], s[28:29]
	v_fma_f64 v[224:225], v[162:163], s[0:1], v[222:223]
	v_add_f64 v[106:107], v[224:225], v[106:107]
	v_mul_f64 v[224:225], v[120:121], s[38:39]
	v_mul_f64 v[120:121], v[120:121], s[22:23]
	v_fma_f64 v[226:227], v[156:157], s[2:3], -v[224:225]
	v_add_f64 v[104:105], v[226:227], v[104:105]
	v_mul_f64 v[226:227], v[122:123], s[38:39]
	v_mul_f64 v[122:123], v[122:123], s[22:23]
	v_fma_f64 v[228:229], v[158:159], s[2:3], v[226:227]
	v_add_f64 v[106:107], v[228:229], v[106:107]
	v_mul_f64 v[228:229], v[146:147], s[34:35]
	v_fma_f64 v[230:231], v[148:149], s[10:11], -v[228:229]
	v_add_f64 v[104:105], v[230:231], v[104:105]
	v_mul_f64 v[230:231], v[152:153], s[34:35]
	v_fma_f64 v[232:233], v[154:155], s[10:11], v[230:231]
	v_add_f64 v[232:233], v[232:233], v[106:107]
	v_fma_f64 v[106:107], v[133:134], s[18:19], -v[168:169]
	v_add_f64 v[106:107], v[106:107], v[104:105]
	v_fma_f64 v[104:105], v[128:129], s[18:19], v[170:171]
	v_add_f64 v[104:105], v[104:105], v[232:233]
	v_mul_f64 v[232:233], v[112:113], s[28:29]
	v_fma_f64 v[234:235], v[164:165], s[0:1], -v[232:233]
	v_add_f64 v[174:175], v[234:235], v[174:175]
	v_mul_f64 v[234:235], v[108:109], s[30:31]
	v_fma_f64 v[108:109], v[160:161], s[8:9], -v[234:235]
	v_add_f64 v[108:109], v[108:109], v[174:175]
	v_fma_f64 v[174:175], v[156:157], s[18:19], -v[124:125]
	v_fma_f64 v[124:125], v[156:157], s[18:19], v[124:125]
	v_add_f64 v[108:109], v[174:175], v[108:109]
	v_mul_f64 v[174:175], v[114:115], s[28:29]
	v_fma_f64 v[236:237], v[166:167], s[0:1], v[174:175]
	v_add_f64 v[194:195], v[236:237], v[194:195]
	v_mul_f64 v[236:237], v[110:111], s[30:31]
	v_fma_f64 v[110:111], v[162:163], s[8:9], v[236:237]
	v_add_f64 v[110:111], v[110:111], v[194:195]
	v_fma_f64 v[194:195], v[158:159], s[18:19], v[126:127]
	v_add_f64 v[110:111], v[194:195], v[110:111]
	v_mul_f64 v[194:195], v[146:147], s[26:27]
	v_mul_f64 v[146:147], v[146:147], s[36:37]
	v_fma_f64 v[238:239], v[148:149], s[16:17], -v[194:195]
	v_add_f64 v[108:109], v[238:239], v[108:109]
	v_mul_f64 v[238:239], v[152:153], s[26:27]
	v_mul_f64 v[152:153], v[152:153], s[36:37]
	v_fma_f64 v[240:241], v[154:155], s[16:17], v[238:239]
	v_add_f64 v[240:241], v[240:241], v[110:111]
	v_fma_f64 v[110:111], v[133:134], s[2:3], -v[242:243]
	v_add_f64 v[110:111], v[110:111], v[108:109]
	v_fma_f64 v[108:109], v[128:129], s[2:3], v[244:245]
	v_add_f64 v[108:109], v[108:109], v[240:241]
	v_mul_f64 v[240:241], v[112:113], s[38:39]
	v_fma_f64 v[112:113], v[164:165], s[2:3], -v[240:241]
	v_add_f64 v[112:113], v[112:113], v[172:173]
	v_mul_f64 v[172:173], v[114:115], s[38:39]
	v_fma_f64 v[114:115], v[166:167], s[2:3], v[172:173]
	v_fma_f64 v[172:173], v[166:167], s[2:3], -v[172:173]
	v_add_f64 v[114:115], v[114:115], v[192:193]
	v_fma_f64 v[192:193], v[160:161], s[18:19], -v[116:117]
	v_fma_f64 v[116:117], v[160:161], s[18:19], v[116:117]
	v_add_f64 v[172:173], v[172:173], v[200:201]
	v_add_f64 v[112:113], v[192:193], v[112:113]
	v_fma_f64 v[192:193], v[162:163], s[18:19], v[118:119]
	v_fma_f64 v[118:119], v[162:163], s[18:19], -v[118:119]
	v_add_f64 v[114:115], v[192:193], v[114:115]
	v_fma_f64 v[192:193], v[156:157], s[10:11], -v[120:121]
	v_fma_f64 v[120:121], v[156:157], s[10:11], v[120:121]
	v_add_f64 v[118:119], v[118:119], v[172:173]
	v_add_f64 v[112:113], v[192:193], v[112:113]
	v_fma_f64 v[192:193], v[158:159], s[10:11], v[122:123]
	v_add_f64 v[114:115], v[192:193], v[114:115]
	v_fma_f64 v[192:193], v[148:149], s[0:1], -v[146:147]
	v_add_f64 v[112:113], v[192:193], v[112:113]
	v_fma_f64 v[192:193], v[154:155], s[0:1], v[152:153]
	v_add_f64 v[192:193], v[192:193], v[114:115]
	v_fma_f64 v[114:115], v[133:134], s[16:17], -v[150:151]
	v_add_f64 v[114:115], v[114:115], v[112:113]
	v_fma_f64 v[112:113], v[128:129], s[16:17], v[130:131]
	v_add_f64 v[112:113], v[112:113], v[192:193]
	v_fma_f64 v[192:193], v[164:165], s[2:3], v[240:241]
	v_add_f64 v[182:183], v[192:193], v[182:183]
	v_add_f64 v[116:117], v[116:117], v[182:183]
	v_add_f64 v[116:117], v[120:121], v[116:117]
	v_fma_f64 v[120:121], v[158:159], s[10:11], -v[122:123]
	v_fma_f64 v[122:123], v[128:129], s[16:17], -v[130:131]
	v_fma_f64 v[130:131], v[160:161], s[8:9], v[234:235]
	v_add_f64 v[118:119], v[120:121], v[118:119]
	v_fma_f64 v[120:121], v[148:149], s[0:1], v[146:147]
	v_fma_f64 v[146:147], v[128:129], s[18:19], -v[170:171]
	v_add_f64 v[116:117], v[120:121], v[116:117]
	v_fma_f64 v[120:121], v[154:155], s[0:1], -v[152:153]
	v_fma_f64 v[152:153], v[162:163], s[10:11], -v[190:191]
	v_add_f64 v[120:121], v[120:121], v[118:119]
	v_fma_f64 v[118:119], v[133:134], s[16:17], v[150:151]
	v_fma_f64 v[150:151], v[160:161], s[10:11], v[188:189]
	v_add_f64 v[118:119], v[118:119], v[116:117]
	v_add_f64 v[116:117], v[122:123], v[120:121]
	v_fma_f64 v[120:121], v[164:165], s[0:1], v[232:233]
	v_fma_f64 v[122:123], v[166:167], s[0:1], -v[174:175]
	v_add_f64 v[120:121], v[120:121], v[184:185]
	v_add_f64 v[122:123], v[122:123], v[202:203]
	;; [unrolled: 1-line block ×3, first 2 shown]
	v_fma_f64 v[130:131], v[162:163], s[8:9], -v[236:237]
	v_add_f64 v[120:121], v[124:125], v[120:121]
	v_add_f64 v[122:123], v[130:131], v[122:123]
	v_fma_f64 v[124:125], v[158:159], s[18:19], -v[126:127]
	v_fma_f64 v[126:127], v[128:129], s[2:3], -v[244:245]
	v_fma_f64 v[130:131], v[160:161], s[0:1], v[204:205]
	v_fma_f64 v[128:129], v[128:129], s[0:1], -v[218:219]
	v_add_f64 v[122:123], v[124:125], v[122:123]
	v_fma_f64 v[124:125], v[148:149], s[16:17], v[194:195]
	v_add_f64 v[120:121], v[124:125], v[120:121]
	v_fma_f64 v[124:125], v[154:155], s[16:17], -v[238:239]
	v_add_f64 v[124:125], v[124:125], v[122:123]
	v_fma_f64 v[122:123], v[133:134], s[2:3], v[242:243]
	v_add_f64 v[122:123], v[122:123], v[120:121]
	v_add_f64 v[120:121], v[126:127], v[124:125]
	v_fma_f64 v[124:125], v[164:165], s[8:9], v[220:221]
	v_fma_f64 v[126:127], v[166:167], s[8:9], -v[186:187]
	v_add_f64 v[124:125], v[124:125], v[176:177]
	v_add_f64 v[126:127], v[126:127], v[196:197]
	v_add_f64 v[124:125], v[130:131], v[124:125]
	v_fma_f64 v[130:131], v[162:163], s[0:1], -v[222:223]
	v_add_f64 v[126:127], v[130:131], v[126:127]
	v_fma_f64 v[130:131], v[156:157], s[2:3], v[224:225]
	v_fma_f64 v[156:157], v[156:157], s[8:9], v[198:199]
	v_add_f64 v[124:125], v[130:131], v[124:125]
	v_fma_f64 v[130:131], v[158:159], s[2:3], -v[226:227]
	v_add_f64 v[126:127], v[130:131], v[126:127]
	v_fma_f64 v[130:131], v[148:149], s[10:11], v[228:229]
	v_fma_f64 v[148:149], v[148:149], s[2:3], v[212:213]
	v_add_f64 v[124:125], v[130:131], v[124:125]
	;; [unrolled: 5-line block ×3, first 2 shown]
	v_add_f64 v[124:125], v[146:147], v[130:131]
	v_fma_f64 v[130:131], v[164:165], s[16:17], v[178:179]
	v_fma_f64 v[146:147], v[166:167], s[16:17], -v[180:181]
	v_add_f64 v[130:131], v[130:131], v[208:209]
	v_add_f64 v[146:147], v[146:147], v[210:211]
	;; [unrolled: 1-line block ×3, first 2 shown]
	v_fma_f64 v[150:151], v[158:159], s[8:9], -v[206:207]
	v_add_f64 v[146:147], v[152:153], v[146:147]
	v_fma_f64 v[152:153], v[154:155], s[2:3], -v[214:215]
	v_add_f64 v[130:131], v[156:157], v[130:131]
	v_add_f64 v[146:147], v[150:151], v[146:147]
	;; [unrolled: 1-line block ×5, first 2 shown]
	v_mov_b32_e32 v133, 4
	v_add_f64 v[128:129], v[128:129], v[146:147]
	v_lshlrev_b32_sdwa v133, v133, v141 dst_sel:DWORD dst_unused:UNUSED_PAD src0_sel:DWORD src1_sel:WORD_0
	ds_write_b128 v133, v[0:3]
	ds_write_b128 v133, v[100:103] offset:16
	ds_write_b128 v133, v[104:107] offset:32
	;; [unrolled: 1-line block ×12, first 2 shown]
.LBB0_13:
	s_or_b32 exec_lo, exec_lo, s33
	s_waitcnt lgkmcnt(0)
	s_barrier
	buffer_gl0_inv
	ds_read_b128 v[0:3], v140 offset:2496
	ds_read_b128 v[84:87], v140 offset:4992
	;; [unrolled: 1-line block ×10, first 2 shown]
	ds_read_b128 v[120:123], v140
	ds_read_b128 v[124:127], v140 offset:832
	s_waitcnt lgkmcnt(0)
	s_barrier
	buffer_gl0_inv
	s_mov_b32 s0, 0xe8584caa
	s_mov_b32 s1, 0xbfebb67a
	s_mov_b32 s3, 0x3febb67a
	s_mov_b32 s2, s0
	v_mul_f64 v[128:129], v[38:39], v[2:3]
	v_mul_f64 v[38:39], v[38:39], v[0:1]
	;; [unrolled: 1-line block ×18, first 2 shown]
	v_fma_f64 v[0:1], v[36:37], v[0:1], v[128:129]
	v_fma_f64 v[2:3], v[36:37], v[2:3], -v[38:39]
	v_fma_f64 v[36:37], v[32:33], v[84:85], v[130:131]
	v_fma_f64 v[32:33], v[32:33], v[86:87], -v[34:35]
	;; [unrolled: 2-line block ×9, first 2 shown]
	v_add_f64 v[36:37], v[120:121], -v[36:37]
	v_add_f64 v[42:43], v[122:123], -v[32:33]
	;; [unrolled: 1-line block ×12, first 2 shown]
	v_fma_f64 v[46:47], v[120:121], 2.0, -v[36:37]
	v_fma_f64 v[48:49], v[122:123], 2.0, -v[42:43]
	;; [unrolled: 1-line block ×4, first 2 shown]
	v_add_f64 v[0:1], v[36:37], v[28:29]
	v_add_f64 v[2:3], v[42:43], -v[32:33]
	v_fma_f64 v[88:89], v[124:125], 2.0, -v[50:51]
	v_fma_f64 v[90:91], v[126:127], 2.0, -v[84:85]
	;; [unrolled: 1-line block ×4, first 2 shown]
	v_add_f64 v[16:17], v[50:51], v[16:17]
	v_fma_f64 v[94:95], v[116:117], 2.0, -v[86:87]
	v_fma_f64 v[96:97], v[118:119], 2.0, -v[92:93]
	;; [unrolled: 1-line block ×4, first 2 shown]
	v_add_f64 v[18:19], v[84:85], -v[34:35]
	v_add_f64 v[28:29], v[86:87], v[40:41]
	v_add_f64 v[20:21], v[46:47], -v[20:21]
	v_add_f64 v[22:23], v[48:49], -v[22:23]
	v_fma_f64 v[36:37], v[36:37], 2.0, -v[0:1]
	v_add_f64 v[24:25], v[88:89], -v[26:27]
	v_add_f64 v[26:27], v[90:91], -v[30:31]
	;; [unrolled: 1-line block ×3, first 2 shown]
	v_fma_f64 v[40:41], v[50:51], 2.0, -v[16:17]
	v_add_f64 v[32:33], v[94:95], -v[98:99]
	v_add_f64 v[34:35], v[96:97], -v[38:39]
	v_fma_f64 v[38:39], v[42:43], 2.0, -v[2:3]
	v_fma_f64 v[42:43], v[84:85], 2.0, -v[18:19]
	;; [unrolled: 1-line block ×10, first 2 shown]
	ds_write_b128 v145, v[0:3] offset:624
	ds_write_b128 v145, v[36:39] offset:208
	;; [unrolled: 1-line block ×3, first 2 shown]
	ds_write_b128 v145, v[44:47]
	ds_write_b128 v144, v[48:51]
	ds_write_b128 v144, v[40:43] offset:208
	ds_write_b128 v144, v[24:27] offset:416
	;; [unrolled: 1-line block ×3, first 2 shown]
	ds_write_b128 v143, v[88:91]
	ds_write_b128 v143, v[84:87] offset:208
	ds_write_b128 v143, v[32:35] offset:416
	ds_write_b128 v143, v[28:31] offset:624
	s_waitcnt lgkmcnt(0)
	s_barrier
	buffer_gl0_inv
	ds_read_b128 v[0:3], v140 offset:4992
	ds_read_b128 v[16:19], v140 offset:8320
	;; [unrolled: 1-line block ×8, first 2 shown]
	s_waitcnt lgkmcnt(7)
	v_mul_f64 v[44:45], v[54:55], v[0:1]
	s_waitcnt lgkmcnt(6)
	v_mul_f64 v[46:47], v[58:59], v[16:17]
	s_waitcnt lgkmcnt(5)
	v_mul_f64 v[84:85], v[54:55], v[20:21]
	s_waitcnt lgkmcnt(4)
	v_mul_f64 v[86:87], v[58:59], v[24:25]
	s_waitcnt lgkmcnt(3)
	v_mul_f64 v[88:89], v[6:7], v[28:29]
	v_mul_f64 v[90:91], v[54:55], v[2:3]
	v_mul_f64 v[92:93], v[58:59], v[18:19]
	;; [unrolled: 1-line block ×4, first 2 shown]
	s_waitcnt lgkmcnt(0)
	v_mul_f64 v[96:97], v[10:11], v[42:43]
	v_mul_f64 v[98:99], v[10:11], v[40:41]
	;; [unrolled: 1-line block ×3, first 2 shown]
	v_fma_f64 v[94:95], v[52:53], v[2:3], -v[44:45]
	v_fma_f64 v[18:19], v[56:57], v[18:19], -v[46:47]
	v_mul_f64 v[2:3], v[6:7], v[32:33]
	v_fma_f64 v[22:23], v[52:53], v[22:23], -v[84:85]
	v_fma_f64 v[26:27], v[56:57], v[26:27], -v[86:87]
	ds_read_b128 v[44:47], v140 offset:4160
	ds_read_b128 v[48:51], v140 offset:7488
	v_mul_f64 v[84:85], v[14:15], v[38:39]
	v_mul_f64 v[86:87], v[14:15], v[36:37]
	v_fma_f64 v[90:91], v[52:53], v[0:1], v[90:91]
	v_fma_f64 v[16:17], v[56:57], v[16:17], v[92:93]
	v_fma_f64 v[30:31], v[4:5], v[30:31], -v[88:89]
	v_mul_f64 v[6:7], v[6:7], v[34:35]
	v_fma_f64 v[20:21], v[52:53], v[20:21], v[54:55]
	v_fma_f64 v[24:25], v[56:57], v[24:25], v[58:59]
	;; [unrolled: 1-line block ×3, first 2 shown]
	v_fma_f64 v[42:43], v[8:9], v[42:43], -v[98:99]
	v_fma_f64 v[28:29], v[4:5], v[28:29], v[100:101]
	v_add_f64 v[88:89], v[94:95], v[18:19]
	s_waitcnt lgkmcnt(1)
	v_mul_f64 v[92:93], v[14:15], v[46:47]
	v_mul_f64 v[14:15], v[14:15], v[44:45]
	s_waitcnt lgkmcnt(0)
	v_mul_f64 v[102:103], v[10:11], v[50:51]
	v_mul_f64 v[10:11], v[10:11], v[48:49]
	v_fma_f64 v[34:35], v[4:5], v[34:35], -v[2:3]
	v_add_f64 v[52:53], v[22:23], v[26:27]
	v_fma_f64 v[36:37], v[12:13], v[36:37], v[84:85]
	v_fma_f64 v[38:39], v[12:13], v[38:39], -v[86:87]
	v_add_f64 v[54:55], v[90:91], v[16:17]
	v_add_f64 v[56:57], v[90:91], -v[16:17]
	ds_read_b128 v[0:3], v140
	v_add_f64 v[96:97], v[22:23], -v[26:27]
	v_fma_f64 v[58:59], v[88:89], -0.5, v[30:31]
	v_fma_f64 v[44:45], v[12:13], v[44:45], v[92:93]
	v_fma_f64 v[12:13], v[12:13], v[46:47], -v[14:15]
	v_fma_f64 v[14:15], v[8:9], v[48:49], v[102:103]
	v_fma_f64 v[8:9], v[8:9], v[50:51], -v[10:11]
	v_fma_f64 v[10:11], v[4:5], v[32:33], v[6:7]
	ds_read_b128 v[4:7], v140 offset:832
	v_add_f64 v[32:33], v[20:21], v[24:25]
	v_add_f64 v[46:47], v[20:21], -v[24:25]
	v_fma_f64 v[48:49], v[52:53], -0.5, v[34:35]
	v_add_f64 v[52:53], v[36:37], v[40:41]
	v_add_f64 v[84:85], v[38:39], -v[42:43]
	s_waitcnt lgkmcnt(1)
	v_add_f64 v[86:87], v[2:3], v[38:39]
	v_add_f64 v[38:39], v[38:39], v[42:43]
	v_add_f64 v[88:89], v[94:95], -v[18:19]
	v_fma_f64 v[54:55], v[54:55], -0.5, v[28:29]
	v_add_f64 v[50:51], v[0:1], v[36:37]
	v_add_f64 v[28:29], v[28:29], v[90:91]
	;; [unrolled: 1-line block ×3, first 2 shown]
	v_add_f64 v[36:37], v[36:37], -v[40:41]
	s_waitcnt lgkmcnt(0)
	s_barrier
	v_fma_f64 v[92:93], v[56:57], s[2:3], v[58:59]
	v_fma_f64 v[56:57], v[56:57], s[0:1], v[58:59]
	buffer_gl0_inv
	v_add_f64 v[58:59], v[44:45], v[14:15]
	v_add_f64 v[90:91], v[12:13], v[8:9]
	v_add_f64 v[98:99], v[12:13], -v[8:9]
	v_add_f64 v[12:13], v[6:7], v[12:13]
	v_fma_f64 v[32:33], v[32:33], -0.5, v[10:11]
	v_add_f64 v[10:11], v[10:11], v[20:21]
	v_fma_f64 v[94:95], v[46:47], s[2:3], v[48:49]
	v_fma_f64 v[46:47], v[46:47], s[0:1], v[48:49]
	v_add_f64 v[48:49], v[4:5], v[44:45]
	v_add_f64 v[20:21], v[34:35], v[22:23]
	v_fma_f64 v[0:1], v[52:53], -0.5, v[0:1]
	v_add_f64 v[34:35], v[86:87], v[42:43]
	v_fma_f64 v[2:3], v[38:39], -0.5, v[2:3]
	v_fma_f64 v[38:39], v[88:89], s[0:1], v[54:55]
	v_add_f64 v[22:23], v[50:51], v[40:41]
	v_fma_f64 v[40:41], v[88:89], s[2:3], v[54:55]
	v_add_f64 v[44:45], v[44:45], -v[14:15]
	v_add_f64 v[16:17], v[28:29], v[16:17]
	v_add_f64 v[18:19], v[30:31], v[18:19]
	v_mul_f64 v[42:43], v[92:93], s[0:1]
	v_mul_f64 v[52:53], v[92:93], 0.5
	v_mul_f64 v[50:51], v[56:57], s[0:1]
	v_mul_f64 v[54:55], v[56:57], -0.5
	v_fma_f64 v[4:5], v[58:59], -0.5, v[4:5]
	v_fma_f64 v[6:7], v[90:91], -0.5, v[6:7]
	v_add_f64 v[28:29], v[12:13], v[8:9]
	v_fma_f64 v[56:57], v[96:97], s[0:1], v[32:33]
	v_fma_f64 v[32:33], v[96:97], s[2:3], v[32:33]
	v_mul_f64 v[58:59], v[94:95], s[0:1]
	v_mul_f64 v[88:89], v[94:95], 0.5
	v_mul_f64 v[86:87], v[46:47], s[0:1]
	v_mul_f64 v[46:47], v[46:47], -0.5
	v_add_f64 v[14:15], v[48:49], v[14:15]
	v_add_f64 v[12:13], v[10:11], v[24:25]
	;; [unrolled: 1-line block ×3, first 2 shown]
	v_fma_f64 v[24:25], v[84:85], s[0:1], v[0:1]
	v_fma_f64 v[30:31], v[36:37], s[2:3], v[2:3]
	;; [unrolled: 1-line block ×4, first 2 shown]
	v_add_f64 v[0:1], v[22:23], v[16:17]
	v_add_f64 v[2:3], v[34:35], v[18:19]
	v_fma_f64 v[42:43], v[38:39], 0.5, v[42:43]
	v_fma_f64 v[38:39], v[38:39], s[2:3], v[52:53]
	v_fma_f64 v[48:49], v[40:41], -0.5, v[50:51]
	v_fma_f64 v[40:41], v[40:41], s[2:3], v[54:55]
	v_fma_f64 v[50:51], v[98:99], s[0:1], v[4:5]
	;; [unrolled: 1-line block ×5, first 2 shown]
	v_add_f64 v[4:5], v[22:23], -v[16:17]
	v_fma_f64 v[44:45], v[56:57], 0.5, v[58:59]
	v_fma_f64 v[56:57], v[56:57], s[2:3], v[88:89]
	v_fma_f64 v[58:59], v[32:33], -0.5, v[86:87]
	v_fma_f64 v[46:47], v[32:33], s[2:3], v[46:47]
	v_add_f64 v[6:7], v[34:35], -v[18:19]
	v_add_f64 v[8:9], v[14:15], v[12:13]
	v_add_f64 v[10:11], v[28:29], v[20:21]
	v_add_f64 v[12:13], v[14:15], -v[12:13]
	v_add_f64 v[14:15], v[28:29], -v[20:21]
	v_add_f64 v[16:17], v[24:25], v[42:43]
	v_add_f64 v[18:19], v[30:31], v[38:39]
	;; [unrolled: 1-line block ×4, first 2 shown]
	v_add_f64 v[24:25], v[24:25], -v[42:43]
	v_add_f64 v[28:29], v[26:27], -v[48:49]
	;; [unrolled: 1-line block ×4, first 2 shown]
	v_add_f64 v[32:33], v[50:51], v[44:45]
	v_add_f64 v[34:35], v[54:55], v[56:57]
	;; [unrolled: 1-line block ×4, first 2 shown]
	v_add_f64 v[40:41], v[50:51], -v[44:45]
	v_add_f64 v[42:43], v[54:55], -v[56:57]
	;; [unrolled: 1-line block ×4, first 2 shown]
	ds_write_b128 v140, v[0:3]
	ds_write_b128 v140, v[4:7] offset:2496
	ds_write_b128 v140, v[8:11] offset:4992
	;; [unrolled: 1-line block ×11, first 2 shown]
	s_waitcnt lgkmcnt(0)
	s_barrier
	buffer_gl0_inv
	ds_read_b128 v[0:3], v140 offset:4992
	ds_read_b128 v[4:7], v140 offset:5824
	;; [unrolled: 1-line block ×6, first 2 shown]
	ds_read_b128 v[24:27], v140
	ds_read_b128 v[28:31], v140 offset:832
	ds_read_b128 v[32:35], v140 offset:1664
	;; [unrolled: 1-line block ×3, first 2 shown]
	s_waitcnt lgkmcnt(9)
	v_mul_f64 v[40:41], v[66:67], v[2:3]
	v_mul_f64 v[42:43], v[66:67], v[0:1]
	s_waitcnt lgkmcnt(8)
	v_mul_f64 v[44:45], v[62:63], v[6:7]
	v_mul_f64 v[46:47], v[62:63], v[4:5]
	;; [unrolled: 3-line block ×6, first 2 shown]
	v_fma_f64 v[40:41], v[64:65], v[0:1], v[40:41]
	v_fma_f64 v[42:43], v[64:65], v[2:3], -v[42:43]
	v_fma_f64 v[44:45], v[60:61], v[4:5], v[44:45]
	v_fma_f64 v[46:47], v[60:61], v[6:7], -v[46:47]
	;; [unrolled: 2-line block ×6, first 2 shown]
	ds_read_b128 v[0:3], v140 offset:3328
	ds_read_b128 v[4:7], v140 offset:4160
	s_waitcnt lgkmcnt(5)
	v_add_f64 v[8:9], v[24:25], -v[40:41]
	v_add_f64 v[10:11], v[26:27], -v[42:43]
	s_waitcnt lgkmcnt(4)
	v_add_f64 v[12:13], v[28:29], -v[44:45]
	v_add_f64 v[14:15], v[30:31], -v[46:47]
	;; [unrolled: 3-line block ×6, first 2 shown]
	v_fma_f64 v[24:25], v[24:25], 2.0, -v[8:9]
	v_fma_f64 v[26:27], v[26:27], 2.0, -v[10:11]
	;; [unrolled: 1-line block ×12, first 2 shown]
	ds_write_b128 v140, v[8:11] offset:4992
	ds_write_b128 v140, v[12:15] offset:5824
	;; [unrolled: 1-line block ×6, first 2 shown]
	ds_write_b128 v140, v[24:27]
	ds_write_b128 v140, v[28:31] offset:832
	ds_write_b128 v140, v[32:35] offset:1664
	;; [unrolled: 1-line block ×5, first 2 shown]
	s_waitcnt lgkmcnt(0)
	s_barrier
	buffer_gl0_inv
	s_and_b32 exec_lo, exec_lo, vcc_lo
	s_cbranch_execz .LBB0_15
; %bb.14:
	v_add_co_u32 v36, s0, s14, v139
	v_add_co_ci_u32_e64 v37, null, s15, 0, s0
	s_clause 0x2
	global_load_dwordx4 v[0:3], v139, s[14:15]
	global_load_dwordx4 v[4:7], v139, s[14:15] offset:768
	global_load_dwordx4 v[8:11], v139, s[14:15] offset:1536
	v_add_co_u32 v16, vcc_lo, 0x800, v36
	v_add_co_ci_u32_e32 v17, vcc_lo, 0, v37, vcc_lo
	v_add_co_u32 v28, vcc_lo, 0x1000, v36
	v_add_co_ci_u32_e32 v29, vcc_lo, 0, v37, vcc_lo
	v_add_co_u32 v40, vcc_lo, 0x1800, v36
	v_lshlrev_b32_e32 v20, 4, v137
	v_add_co_ci_u32_e32 v41, vcc_lo, 0, v37, vcc_lo
	v_lshlrev_b32_e32 v32, 4, v136
	s_clause 0x5
	global_load_dwordx4 v[12:15], v[16:17], off offset:256
	global_load_dwordx4 v[16:19], v[16:17], off offset:1792
	global_load_dwordx4 v[20:23], v20, s[14:15]
	global_load_dwordx4 v[24:27], v[28:29], off offset:512
	global_load_dwordx4 v[28:31], v[28:29], off offset:1280
	global_load_dwordx4 v[32:35], v32, s[14:15]
	v_add_co_u32 v44, vcc_lo, 0x2000, v36
	v_add_co_ci_u32_e32 v45, vcc_lo, 0, v37, vcc_lo
	global_load_dwordx4 v[36:39], v[40:41], off offset:768
	v_lshlrev_b32_e32 v48, 4, v135
	s_clause 0x2
	global_load_dwordx4 v[40:43], v[40:41], off offset:1536
	global_load_dwordx4 v[44:47], v[44:45], off offset:256
	global_load_dwordx4 v[48:51], v48, s[14:15]
	v_mad_u64_u32 v[88:89], null, s6, v132, 0
	v_mad_u64_u32 v[96:97], null, s4, v138, 0
	;; [unrolled: 1-line block ×4, first 2 shown]
	v_mov_b32_e32 v72, v89
	ds_read_b128 v[52:55], v140
	v_mov_b32_e32 v73, v97
	ds_read_b128 v[56:59], v142 offset:768
	ds_read_b128 v[60:63], v142 offset:1536
	;; [unrolled: 1-line block ×4, first 2 shown]
	v_mad_u64_u32 v[108:109], null, s4, v135, 0
	v_mad_u64_u32 v[80:81], null, s7, v132, v[72:73]
	;; [unrolled: 1-line block ×3, first 2 shown]
	ds_read_b128 v[72:75], v142 offset:3840
	ds_read_b128 v[76:79], v142 offset:4608
	s_mul_i32 s2, s5, 0x300
	s_mul_hi_u32 s3, s4, 0x300
	s_mul_i32 s6, s4, 0x300
	v_mov_b32_e32 v89, v80
	ds_read_b128 v[80:83], v142 offset:5376
	ds_read_b128 v[84:87], v142 offset:6144
	v_mov_b32_e32 v97, v90
	s_add_i32 s3, s3, s2
	s_mul_i32 s7, s5, 0x600
	v_lshlrev_b64 v[98:99], 4, v[88:89]
	ds_read_b128 v[88:91], v142 offset:6912
	ds_read_b128 v[92:95], v142 offset:7680
	v_lshlrev_b64 v[96:97], 4, v[96:97]
	s_mov_b32 s0, 0x1a41a41a
	s_mov_b32 s1, 0x3f5a41a4
	v_add_co_u32 v153, vcc_lo, s12, v98
	v_add_co_ci_u32_e32 v154, vcc_lo, s13, v99, vcc_lo
	v_add_co_u32 v110, vcc_lo, v153, v96
	v_add_co_ci_u32_e32 v111, vcc_lo, v154, v97, vcc_lo
	v_mov_b32_e32 v96, v105
	v_mov_b32_e32 v97, v107
	;; [unrolled: 1-line block ×3, first 2 shown]
	v_add_co_u32 v112, vcc_lo, v110, s6
	v_add_co_ci_u32_e32 v113, vcc_lo, s3, v111, vcc_lo
	v_mad_u64_u32 v[118:119], null, s5, v137, v[96:97]
	v_mad_u64_u32 v[121:122], null, s5, v136, v[97:98]
	ds_read_b128 v[96:99], v142 offset:8448
	ds_read_b128 v[100:103], v142 offset:9216
	v_mad_u64_u32 v[122:123], null, s5, v135, v[105:106]
	v_add_co_u32 v114, vcc_lo, v112, s6
	v_add_co_ci_u32_e32 v115, vcc_lo, s3, v113, vcc_lo
	v_mov_b32_e32 v107, v121
	v_add_co_u32 v116, vcc_lo, v114, s6
	v_add_co_ci_u32_e32 v117, vcc_lo, s3, v115, vcc_lo
	v_mov_b32_e32 v105, v118
	v_mov_b32_e32 v109, v122
	v_lshlrev_b64 v[106:107], 4, v[106:107]
	v_mad_u64_u32 v[119:120], null, 0x600, s4, v[116:117]
	v_lshlrev_b64 v[104:105], 4, v[104:105]
	v_lshlrev_b64 v[108:109], 4, v[108:109]
	v_add_nc_u32_e32 v120, s7, v120
	v_add_co_u32 v123, vcc_lo, v119, s6
	v_add_co_ci_u32_e32 v124, vcc_lo, s3, v120, vcc_lo
	v_add_co_u32 v121, vcc_lo, v123, s6
	v_add_co_ci_u32_e32 v122, vcc_lo, s3, v124, vcc_lo
	;; [unrolled: 2-line block ×3, first 2 shown]
	v_mad_u64_u32 v[125:126], null, 0x600, s4, v[121:122]
	v_add_co_u32 v106, vcc_lo, v153, v106
	v_add_co_ci_u32_e32 v107, vcc_lo, v154, v107, vcc_lo
	v_add_nc_u32_e32 v126, s7, v126
	s_waitcnt vmcnt(12) lgkmcnt(12)
	v_mul_f64 v[127:128], v[54:55], v[2:3]
	v_mul_f64 v[2:3], v[52:53], v[2:3]
	s_waitcnt vmcnt(11) lgkmcnt(11)
	v_mul_f64 v[129:130], v[58:59], v[6:7]
	v_mul_f64 v[6:7], v[56:57], v[6:7]
	;; [unrolled: 3-line block ×5, first 2 shown]
	s_waitcnt lgkmcnt(7)
	v_mul_f64 v[137:138], v[74:75], v[18:19]
	v_mul_f64 v[18:19], v[72:73], v[18:19]
	s_waitcnt vmcnt(6) lgkmcnt(6)
	v_mul_f64 v[139:140], v[78:79], v[26:27]
	v_mul_f64 v[26:27], v[76:77], v[26:27]
	s_waitcnt vmcnt(5) lgkmcnt(5)
	;; [unrolled: 3-line block ×7, first 2 shown]
	v_mul_f64 v[151:152], v[102:103], v[50:51]
	v_mul_f64 v[50:51], v[100:101], v[50:51]
	v_fma_f64 v[52:53], v[52:53], v[0:1], v[127:128]
	v_fma_f64 v[2:3], v[0:1], v[54:55], -v[2:3]
	v_fma_f64 v[54:55], v[56:57], v[4:5], v[129:130]
	v_fma_f64 v[6:7], v[4:5], v[58:59], -v[6:7]
	;; [unrolled: 2-line block ×13, first 2 shown]
	v_mul_f64 v[0:1], v[52:53], s[0:1]
	v_mul_f64 v[2:3], v[2:3], s[0:1]
	;; [unrolled: 1-line block ×26, first 2 shown]
	v_add_co_u32 v52, vcc_lo, v125, s6
	v_add_co_ci_u32_e32 v53, vcc_lo, s3, v126, vcc_lo
	v_add_co_u32 v54, vcc_lo, v153, v108
	v_add_co_ci_u32_e32 v55, vcc_lo, v154, v109, vcc_lo
	;; [unrolled: 2-line block ×3, first 2 shown]
	global_store_dwordx4 v[110:111], v[0:3], off
	global_store_dwordx4 v[112:113], v[4:7], off
	;; [unrolled: 1-line block ×13, first 2 shown]
.LBB0_15:
	s_endpgm
	.section	.rodata,"a",@progbits
	.p2align	6, 0x0
	.amdhsa_kernel bluestein_single_back_len624_dim1_dp_op_CI_CI
		.amdhsa_group_segment_fixed_size 9984
		.amdhsa_private_segment_fixed_size 0
		.amdhsa_kernarg_size 104
		.amdhsa_user_sgpr_count 6
		.amdhsa_user_sgpr_private_segment_buffer 1
		.amdhsa_user_sgpr_dispatch_ptr 0
		.amdhsa_user_sgpr_queue_ptr 0
		.amdhsa_user_sgpr_kernarg_segment_ptr 1
		.amdhsa_user_sgpr_dispatch_id 0
		.amdhsa_user_sgpr_flat_scratch_init 0
		.amdhsa_user_sgpr_private_segment_size 0
		.amdhsa_wavefront_size32 1
		.amdhsa_uses_dynamic_stack 0
		.amdhsa_system_sgpr_private_segment_wavefront_offset 0
		.amdhsa_system_sgpr_workgroup_id_x 1
		.amdhsa_system_sgpr_workgroup_id_y 0
		.amdhsa_system_sgpr_workgroup_id_z 0
		.amdhsa_system_sgpr_workgroup_info 0
		.amdhsa_system_vgpr_workitem_id 0
		.amdhsa_next_free_vgpr 246
		.amdhsa_next_free_sgpr 46
		.amdhsa_reserve_vcc 1
		.amdhsa_reserve_flat_scratch 0
		.amdhsa_float_round_mode_32 0
		.amdhsa_float_round_mode_16_64 0
		.amdhsa_float_denorm_mode_32 3
		.amdhsa_float_denorm_mode_16_64 3
		.amdhsa_dx10_clamp 1
		.amdhsa_ieee_mode 1
		.amdhsa_fp16_overflow 0
		.amdhsa_workgroup_processor_mode 1
		.amdhsa_memory_ordered 1
		.amdhsa_forward_progress 0
		.amdhsa_shared_vgpr_count 0
		.amdhsa_exception_fp_ieee_invalid_op 0
		.amdhsa_exception_fp_denorm_src 0
		.amdhsa_exception_fp_ieee_div_zero 0
		.amdhsa_exception_fp_ieee_overflow 0
		.amdhsa_exception_fp_ieee_underflow 0
		.amdhsa_exception_fp_ieee_inexact 0
		.amdhsa_exception_int_div_zero 0
	.end_amdhsa_kernel
	.text
.Lfunc_end0:
	.size	bluestein_single_back_len624_dim1_dp_op_CI_CI, .Lfunc_end0-bluestein_single_back_len624_dim1_dp_op_CI_CI
                                        ; -- End function
	.section	.AMDGPU.csdata,"",@progbits
; Kernel info:
; codeLenInByte = 18000
; NumSgprs: 48
; NumVgprs: 246
; ScratchSize: 0
; MemoryBound: 0
; FloatMode: 240
; IeeeMode: 1
; LDSByteSize: 9984 bytes/workgroup (compile time only)
; SGPRBlocks: 5
; VGPRBlocks: 30
; NumSGPRsForWavesPerEU: 48
; NumVGPRsForWavesPerEU: 246
; Occupancy: 4
; WaveLimiterHint : 1
; COMPUTE_PGM_RSRC2:SCRATCH_EN: 0
; COMPUTE_PGM_RSRC2:USER_SGPR: 6
; COMPUTE_PGM_RSRC2:TRAP_HANDLER: 0
; COMPUTE_PGM_RSRC2:TGID_X_EN: 1
; COMPUTE_PGM_RSRC2:TGID_Y_EN: 0
; COMPUTE_PGM_RSRC2:TGID_Z_EN: 0
; COMPUTE_PGM_RSRC2:TIDIG_COMP_CNT: 0
	.text
	.p2alignl 6, 3214868480
	.fill 48, 4, 3214868480
	.type	__hip_cuid_55c5d3792544e96e,@object ; @__hip_cuid_55c5d3792544e96e
	.section	.bss,"aw",@nobits
	.globl	__hip_cuid_55c5d3792544e96e
__hip_cuid_55c5d3792544e96e:
	.byte	0                               ; 0x0
	.size	__hip_cuid_55c5d3792544e96e, 1

	.ident	"AMD clang version 19.0.0git (https://github.com/RadeonOpenCompute/llvm-project roc-6.4.0 25133 c7fe45cf4b819c5991fe208aaa96edf142730f1d)"
	.section	".note.GNU-stack","",@progbits
	.addrsig
	.addrsig_sym __hip_cuid_55c5d3792544e96e
	.amdgpu_metadata
---
amdhsa.kernels:
  - .args:
      - .actual_access:  read_only
        .address_space:  global
        .offset:         0
        .size:           8
        .value_kind:     global_buffer
      - .actual_access:  read_only
        .address_space:  global
        .offset:         8
        .size:           8
        .value_kind:     global_buffer
      - .actual_access:  read_only
        .address_space:  global
        .offset:         16
        .size:           8
        .value_kind:     global_buffer
      - .actual_access:  read_only
        .address_space:  global
        .offset:         24
        .size:           8
        .value_kind:     global_buffer
      - .actual_access:  read_only
        .address_space:  global
        .offset:         32
        .size:           8
        .value_kind:     global_buffer
      - .offset:         40
        .size:           8
        .value_kind:     by_value
      - .address_space:  global
        .offset:         48
        .size:           8
        .value_kind:     global_buffer
      - .address_space:  global
        .offset:         56
        .size:           8
        .value_kind:     global_buffer
      - .address_space:  global
        .offset:         64
        .size:           8
        .value_kind:     global_buffer
      - .address_space:  global
        .offset:         72
        .size:           8
        .value_kind:     global_buffer
      - .offset:         80
        .size:           4
        .value_kind:     by_value
      - .address_space:  global
        .offset:         88
        .size:           8
        .value_kind:     global_buffer
      - .address_space:  global
        .offset:         96
        .size:           8
        .value_kind:     global_buffer
    .group_segment_fixed_size: 9984
    .kernarg_segment_align: 8
    .kernarg_segment_size: 104
    .language:       OpenCL C
    .language_version:
      - 2
      - 0
    .max_flat_workgroup_size: 52
    .name:           bluestein_single_back_len624_dim1_dp_op_CI_CI
    .private_segment_fixed_size: 0
    .sgpr_count:     48
    .sgpr_spill_count: 0
    .symbol:         bluestein_single_back_len624_dim1_dp_op_CI_CI.kd
    .uniform_work_group_size: 1
    .uses_dynamic_stack: false
    .vgpr_count:     246
    .vgpr_spill_count: 0
    .wavefront_size: 32
    .workgroup_processor_mode: 1
amdhsa.target:   amdgcn-amd-amdhsa--gfx1030
amdhsa.version:
  - 1
  - 2
...

	.end_amdgpu_metadata
